;; amdgpu-corpus repo=zjin-lcf/HeCBench kind=compiled arch=gfx950 opt=O3
	.amdgcn_target "amdgcn-amd-amdhsa--gfx950"
	.amdhsa_code_object_version 6
	.text
	.protected	_Z13kernel0_writePcm    ; -- Begin function _Z13kernel0_writePcm
	.globl	_Z13kernel0_writePcm
	.p2align	8
	.type	_Z13kernel0_writePcm,@function
_Z13kernel0_writePcm:                   ; @_Z13kernel0_writePcm
; %bb.0:
	s_load_dword s3, s[0:1], 0x1c
	s_load_dwordx2 s[4:5], s[0:1], 0x8
	s_add_u32 s6, s0, 16
	s_addc_u32 s7, s1, 0
	s_waitcnt lgkmcnt(0)
	s_and_b32 s8, s3, 0xffff
	s_mul_i32 s2, s2, s8
	v_add_u32_e32 v0, s2, v0
	s_lshr_b64 s[2:3], s[4:5], 20
	v_ashrrev_i32_e32 v1, 31, v0
	v_cmp_gt_u64_e32 vcc, s[2:3], v[0:1]
	s_and_saveexec_b64 s[4:5], vcc
	s_cbranch_execz .LBB0_21
; %bb.1:
	s_load_dword s33, s[6:7], 0x0
	s_load_dwordx2 s[4:5], s[0:1], 0x0
	v_mov_b32_e32 v5, 0
	s_mov_b64 s[0:1], 0
	v_mov_b32_e32 v2, 1
	s_waitcnt lgkmcnt(0)
	s_mul_i32 s33, s33, s8
	v_mov_b32_e32 v3, v5
	s_branch .LBB0_3
.LBB0_2:                                ;   in Loop: Header=BB0_3 Depth=1
	s_or_b64 exec, exec, s[8:9]
	v_add_u32_e32 v0, s33, v0
	v_ashrrev_i32_e32 v1, 31, v0
	v_cmp_le_u64_e32 vcc, s[2:3], v[0:1]
	s_or_b64 s[0:1], vcc, s[0:1]
	s_andn2_b64 exec, exec, s[0:1]
	s_cbranch_execz .LBB0_21
.LBB0_3:                                ; =>This Loop Header: Depth=1
                                        ;     Child Loop BB0_7 Depth 2
                                        ;       Child Loop BB0_13 Depth 3
	v_lshlrev_b32_e32 v8, 20, v0
	v_ashrrev_i32_e32 v9, 31, v8
	v_lshl_add_u64 v[6:7], s[4:5], 0, v[8:9]
	v_add_u32_e32 v8, 0x100000, v8
	v_ashrrev_i32_e32 v9, 31, v8
	v_lshl_add_u64 v[8:9], s[4:5], 0, v[8:9]
	v_cmp_lt_u64_e64 s[6:7], v[6:7], v[8:9]
	v_mov_b32_e32 v1, 8
	v_mov_b32_e32 v4, 2
	s_mov_b64 s[14:15], s[6:7]
	s_mov_b64 s[8:9], 0
	global_store_dwordx2 v[6:7], v[2:3], off
                                        ; implicit-def: $sgpr10_sgpr11
	s_branch .LBB0_7
.LBB0_4:                                ;   in Loop: Header=BB0_7 Depth=2
	s_or_b64 exec, exec, s[14:15]
	s_orn2_b64 s[14:15], s[18:19], exec
.LBB0_5:                                ;   in Loop: Header=BB0_7 Depth=2
	s_or_b64 exec, exec, s[16:17]
	s_andn2_b64 s[10:11], s[10:11], exec
	s_and_b64 s[14:15], s[14:15], exec
	s_or_b64 s[10:11], s[10:11], s[14:15]
                                        ; implicit-def: $sgpr14_sgpr15
.LBB0_6:                                ;   in Loop: Header=BB0_7 Depth=2
	s_or_b64 exec, exec, s[12:13]
	s_and_b64 s[12:13], exec, s[10:11]
	s_or_b64 s[8:9], s[12:13], s[8:9]
	s_or_b64 s[14:15], s[14:15], exec
	s_andn2_b64 exec, exec, s[8:9]
	s_cbranch_execz .LBB0_2
.LBB0_7:                                ;   Parent Loop BB0_3 Depth=1
                                        ; =>  This Loop Header: Depth=2
                                        ;       Child Loop BB0_13 Depth 3
	s_or_b64 s[10:11], s[10:11], exec
	s_and_saveexec_b64 s[12:13], s[14:15]
	s_cbranch_execz .LBB0_6
; %bb.8:                                ;   in Loop: Header=BB0_7 Depth=2
	v_or_b32_e32 v10, v6, v1
	v_mov_b32_e32 v11, v7
	v_cmp_eq_u64_e32 vcc, v[6:7], v[10:11]
	s_mov_b64 s[14:15], -1
	s_mov_b64 s[18:19], -1
	s_and_saveexec_b64 s[16:17], vcc
	s_cbranch_execz .LBB0_18
; %bb.9:                                ;   in Loop: Header=BB0_7 Depth=2
	v_lshlrev_b32_e32 v12, 1, v1
	v_cmp_ne_u32_e32 vcc, 0, v12
	s_mov_b64 s[20:21], 0
                                        ; implicit-def: $vgpr10_vgpr11
                                        ; implicit-def: $vgpr1
	s_and_saveexec_b64 s[18:19], vcc
	s_cbranch_execz .LBB0_17
; %bb.10:                               ;   in Loop: Header=BB0_7 Depth=2
                                        ; implicit-def: $sgpr22_sgpr23
                                        ; implicit-def: $sgpr24_sgpr25
                                        ; implicit-def: $sgpr26_sgpr27
	s_branch .LBB0_13
.LBB0_11:                               ;   in Loop: Header=BB0_13 Depth=3
	s_or_b64 exec, exec, s[36:37]
	s_andn2_b64 s[26:27], s[26:27], exec
	s_and_b64 s[34:35], s[34:35], exec
	s_andn2_b64 s[24:25], s[24:25], exec
	s_and_b64 s[30:31], s[30:31], exec
	s_or_b64 s[26:27], s[26:27], s[34:35]
	s_or_b64 s[24:25], s[24:25], s[30:31]
.LBB0_12:                               ;   in Loop: Header=BB0_13 Depth=3
	s_or_b64 exec, exec, s[28:29]
	s_xor_b64 s[28:29], s[26:27], -1
	s_and_b64 s[30:31], exec, s[24:25]
	s_or_b64 s[20:21], s[30:31], s[20:21]
	s_andn2_b64 s[22:23], s[22:23], exec
	s_and_b64 s[28:29], s[28:29], exec
	s_or_b64 s[22:23], s[22:23], s[28:29]
	s_andn2_b64 exec, exec, s[20:21]
	s_cbranch_execz .LBB0_16
.LBB0_13:                               ;   Parent Loop BB0_3 Depth=1
                                        ;     Parent Loop BB0_7 Depth=2
                                        ; =>    This Inner Loop Header: Depth=3
	v_mov_b32_e32 v1, v12
	s_or_b64 s[26:27], s[26:27], exec
	s_or_b64 s[24:25], s[24:25], exec
                                        ; implicit-def: $vgpr12
                                        ; implicit-def: $vgpr10_vgpr11
	s_and_saveexec_b64 s[28:29], s[6:7]
	s_cbranch_execz .LBB0_12
; %bb.14:                               ;   in Loop: Header=BB0_13 Depth=3
	v_or_b32_e32 v10, v6, v1
	v_mov_b32_e32 v11, v7
	v_cmp_eq_u64_e32 vcc, v[6:7], v[10:11]
	s_mov_b64 s[30:31], -1
	s_mov_b64 s[34:35], 0
                                        ; implicit-def: $vgpr12
	s_and_saveexec_b64 s[36:37], vcc
	s_cbranch_execz .LBB0_11
; %bb.15:                               ;   in Loop: Header=BB0_13 Depth=3
	v_lshlrev_b32_e32 v12, 1, v1
	v_cmp_eq_u32_e32 vcc, 0, v12
	s_mov_b64 s[34:35], exec
	s_orn2_b64 s[30:31], vcc, exec
	s_branch .LBB0_11
.LBB0_16:                               ;   in Loop: Header=BB0_7 Depth=2
	s_or_b64 exec, exec, s[20:21]
	s_and_b64 s[20:21], s[22:23], exec
.LBB0_17:                               ;   in Loop: Header=BB0_7 Depth=2
	s_or_b64 exec, exec, s[18:19]
	s_orn2_b64 s[18:19], s[20:21], exec
.LBB0_18:                               ;   in Loop: Header=BB0_7 Depth=2
	s_or_b64 exec, exec, s[16:17]
	s_and_saveexec_b64 s[16:17], s[18:19]
	s_cbranch_execz .LBB0_5
; %bb.19:                               ;   in Loop: Header=BB0_7 Depth=2
	v_cmp_lt_u64_e32 vcc, v[10:11], v[8:9]
	s_mov_b64 s[18:19], -1
	s_and_saveexec_b64 s[14:15], vcc
	s_cbranch_execz .LBB0_4
; %bb.20:                               ;   in Loop: Header=BB0_7 Depth=2
	v_lshlrev_b32_e32 v1, 1, v1
	v_cmp_eq_u32_e32 vcc, 0, v1
	flat_store_dwordx2 v[10:11], v[4:5]
	v_lshlrev_b32_e32 v4, 1, v4
	s_orn2_b64 s[18:19], vcc, exec
	s_branch .LBB0_4
.LBB0_21:
	s_endpgm
	.section	.rodata,"a",@progbits
	.p2align	6, 0x0
	.amdhsa_kernel _Z13kernel0_writePcm
		.amdhsa_group_segment_fixed_size 0
		.amdhsa_private_segment_fixed_size 0
		.amdhsa_kernarg_size 272
		.amdhsa_user_sgpr_count 2
		.amdhsa_user_sgpr_dispatch_ptr 0
		.amdhsa_user_sgpr_queue_ptr 0
		.amdhsa_user_sgpr_kernarg_segment_ptr 1
		.amdhsa_user_sgpr_dispatch_id 0
		.amdhsa_user_sgpr_kernarg_preload_length 0
		.amdhsa_user_sgpr_kernarg_preload_offset 0
		.amdhsa_user_sgpr_private_segment_size 0
		.amdhsa_uses_dynamic_stack 0
		.amdhsa_enable_private_segment 0
		.amdhsa_system_sgpr_workgroup_id_x 1
		.amdhsa_system_sgpr_workgroup_id_y 0
		.amdhsa_system_sgpr_workgroup_id_z 0
		.amdhsa_system_sgpr_workgroup_info 0
		.amdhsa_system_vgpr_workitem_id 0
		.amdhsa_next_free_vgpr 13
		.amdhsa_next_free_sgpr 38
		.amdhsa_accum_offset 16
		.amdhsa_reserve_vcc 1
		.amdhsa_float_round_mode_32 0
		.amdhsa_float_round_mode_16_64 0
		.amdhsa_float_denorm_mode_32 3
		.amdhsa_float_denorm_mode_16_64 3
		.amdhsa_dx10_clamp 1
		.amdhsa_ieee_mode 1
		.amdhsa_fp16_overflow 0
		.amdhsa_tg_split 0
		.amdhsa_exception_fp_ieee_invalid_op 0
		.amdhsa_exception_fp_denorm_src 0
		.amdhsa_exception_fp_ieee_div_zero 0
		.amdhsa_exception_fp_ieee_overflow 0
		.amdhsa_exception_fp_ieee_underflow 0
		.amdhsa_exception_fp_ieee_inexact 0
		.amdhsa_exception_int_div_zero 0
	.end_amdhsa_kernel
	.text
.Lfunc_end0:
	.size	_Z13kernel0_writePcm, .Lfunc_end0-_Z13kernel0_writePcm
                                        ; -- End function
	.set _Z13kernel0_writePcm.num_vgpr, 13
	.set _Z13kernel0_writePcm.num_agpr, 0
	.set _Z13kernel0_writePcm.numbered_sgpr, 38
	.set _Z13kernel0_writePcm.num_named_barrier, 0
	.set _Z13kernel0_writePcm.private_seg_size, 0
	.set _Z13kernel0_writePcm.uses_vcc, 1
	.set _Z13kernel0_writePcm.uses_flat_scratch, 0
	.set _Z13kernel0_writePcm.has_dyn_sized_stack, 0
	.set _Z13kernel0_writePcm.has_recursion, 0
	.set _Z13kernel0_writePcm.has_indirect_call, 0
	.section	.AMDGPU.csdata,"",@progbits
; Kernel info:
; codeLenInByte = 528
; TotalNumSgprs: 44
; NumVgprs: 13
; NumAgprs: 0
; TotalNumVgprs: 13
; ScratchSize: 0
; MemoryBound: 0
; FloatMode: 240
; IeeeMode: 1
; LDSByteSize: 0 bytes/workgroup (compile time only)
; SGPRBlocks: 5
; VGPRBlocks: 1
; NumSGPRsForWavesPerEU: 44
; NumVGPRsForWavesPerEU: 13
; AccumOffset: 16
; Occupancy: 8
; WaveLimiterHint : 0
; COMPUTE_PGM_RSRC2:SCRATCH_EN: 0
; COMPUTE_PGM_RSRC2:USER_SGPR: 2
; COMPUTE_PGM_RSRC2:TRAP_HANDLER: 0
; COMPUTE_PGM_RSRC2:TGID_X_EN: 1
; COMPUTE_PGM_RSRC2:TGID_Y_EN: 0
; COMPUTE_PGM_RSRC2:TGID_Z_EN: 0
; COMPUTE_PGM_RSRC2:TIDIG_COMP_CNT: 0
; COMPUTE_PGM_RSRC3_GFX90A:ACCUM_OFFSET: 3
; COMPUTE_PGM_RSRC3_GFX90A:TG_SPLIT: 0
	.text
	.protected	_Z12kernel0_readPKcmPjPmS2_S2_S2_ ; -- Begin function _Z12kernel0_readPKcmPjPmS2_S2_S2_
	.globl	_Z12kernel0_readPKcmPjPmS2_S2_S2_
	.p2align	8
	.type	_Z12kernel0_readPKcmPjPmS2_S2_S2_,@function
_Z12kernel0_readPKcmPjPmS2_S2_S2_:      ; @_Z12kernel0_readPKcmPjPmS2_S2_S2_
; %bb.0:
	s_load_dword s3, s[0:1], 0x44
	s_load_dwordx2 s[4:5], s[0:1], 0x8
	s_add_u32 s16, s0, 56
	s_addc_u32 s17, s1, 0
	s_waitcnt lgkmcnt(0)
	s_and_b32 s18, s3, 0xffff
	s_mul_i32 s2, s2, s18
	v_add_u32_e32 v0, s2, v0
	s_lshr_b64 s[2:3], s[4:5], 20
	v_ashrrev_i32_e32 v1, 31, v0
	v_cmp_gt_u64_e32 vcc, s[2:3], v[0:1]
	s_and_saveexec_b64 s[4:5], vcc
	s_cbranch_execz .LBB1_29
; %bb.1:
	s_load_dword s33, s[16:17], 0x0
	s_load_dwordx2 s[12:13], s[0:1], 0x0
	s_load_dwordx8 s[4:11], s[0:1], 0x10
	s_load_dwordx2 s[14:15], s[0:1], 0x30
	v_mov_b32_e32 v3, 0
	s_mov_b64 s[16:17], 0
	s_waitcnt lgkmcnt(0)
	s_mul_i32 s33, s33, s18
	s_mov_b32 s48, 0xcccccccd
	v_mov_b32_e32 v4, 1
	v_mov_b32_e32 v5, v3
	s_branch .LBB1_3
.LBB1_2:                                ;   in Loop: Header=BB1_3 Depth=1
	s_or_b64 exec, exec, s[18:19]
	v_add_u32_e32 v0, s33, v0
	v_ashrrev_i32_e32 v1, 31, v0
	v_cmp_le_u64_e32 vcc, s[2:3], v[0:1]
	s_or_b64 s[16:17], vcc, s[16:17]
	s_andn2_b64 exec, exec, s[16:17]
	s_cbranch_execz .LBB1_29
.LBB1_3:                                ; =>This Loop Header: Depth=1
                                        ;     Child Loop BB1_13 Depth 2
                                        ;       Child Loop BB1_19 Depth 3
	v_lshlrev_b32_e32 v8, 20, v0
	v_ashrrev_i32_e32 v9, 31, v8
	v_lshl_add_u64 v[6:7], s[12:13], 0, v[8:9]
	global_load_dwordx2 v[10:11], v[6:7], off
	s_waitcnt vmcnt(0)
	v_cmp_ne_u64_e32 vcc, 1, v[10:11]
	s_and_saveexec_b64 s[0:1], vcc
	s_xor_b64 s[0:1], exec, s[0:1]
	s_cbranch_execz .LBB1_7
; %bb.4:                                ;   in Loop: Header=BB1_3 Depth=1
	s_mov_b64 s[20:21], exec
	v_mbcnt_lo_u32_b32 v1, s20, 0
	v_mbcnt_hi_u32_b32 v1, s21, v1
	v_cmp_eq_u32_e32 vcc, 0, v1
                                        ; implicit-def: $vgpr2
	s_and_saveexec_b64 s[18:19], vcc
	s_cbranch_execz .LBB1_6
; %bb.5:                                ;   in Loop: Header=BB1_3 Depth=1
	s_bcnt1_i32_b64 s20, s[20:21]
	v_mov_b32_e32 v2, s20
	global_atomic_add v2, v3, v2, s[4:5] sc0
.LBB1_6:                                ;   in Loop: Header=BB1_3 Depth=1
	s_or_b64 exec, exec, s[18:19]
	s_waitcnt vmcnt(0)
	v_readfirstlane_b32 s18, v2
	s_nop 1
	v_add_u32_e32 v1, s18, v1
	v_mul_hi_u32 v2, v1, s48
	v_lshrrev_b32_e32 v2, 3, v2
	v_mul_lo_u32 v2, v2, 10
	v_sub_u32_e32 v1, v1, v2
	v_lshlrev_b32_e32 v1, 3, v1
	global_store_dwordx2 v1, v[6:7], s[6:7]
	global_store_dwordx2 v1, v[4:5], s[8:9]
	;; [unrolled: 1-line block ×4, first 2 shown]
.LBB1_7:                                ;   in Loop: Header=BB1_3 Depth=1
	s_andn2_saveexec_b64 s[0:1], s[0:1]
	s_or_b64 exec, exec, s[0:1]
	v_add_u32_e32 v8, 0x100000, v8
	v_ashrrev_i32_e32 v9, 31, v8
	v_lshl_add_u64 v[8:9], s[12:13], 0, v[8:9]
	v_cmp_lt_u64_e32 vcc, v[6:7], v[8:9]
	v_mov_b32_e32 v1, 8
	s_mov_b64 s[18:19], 0
	v_mov_b32_e32 v2, 2
	v_mov_b64_e32 v[10:11], v[6:7]
                                        ; implicit-def: $sgpr20_sgpr21
	s_branch .LBB1_13
.LBB1_8:                                ;   in Loop: Header=BB1_13 Depth=2
	s_or_b64 exec, exec, s[30:31]
	s_waitcnt vmcnt(0)
	v_readfirstlane_b32 s0, v15
	s_nop 1
	v_add_u32_e32 v14, s0, v14
	v_mul_hi_u32 v15, v14, s48
	v_lshrrev_b32_e32 v15, 3, v15
	v_mul_lo_u32 v15, v15, 10
	v_sub_u32_e32 v14, v14, v15
	v_lshlrev_b32_e32 v14, 3, v14
	global_store_dwordx2 v14, v[10:11], s[6:7]
	global_store_dwordx2 v14, v[2:3], s[8:9]
	;; [unrolled: 1-line block ×4, first 2 shown]
.LBB1_9:                                ;   in Loop: Header=BB1_13 Depth=2
	s_or_b64 exec, exec, s[28:29]
	v_lshlrev_b32_e32 v1, 1, v1
	v_cmp_eq_u32_e64 s[0:1], 0, v1
	v_lshlrev_b32_e32 v2, 1, v2
	s_orn2_b64 s[28:29], s[0:1], exec
.LBB1_10:                               ;   in Loop: Header=BB1_13 Depth=2
	s_or_b64 exec, exec, s[24:25]
	s_orn2_b64 s[24:25], s[28:29], exec
.LBB1_11:                               ;   in Loop: Header=BB1_13 Depth=2
	s_or_b64 exec, exec, s[26:27]
	s_andn2_b64 s[0:1], s[20:21], exec
	s_and_b64 s[20:21], s[24:25], exec
	s_or_b64 s[20:21], s[0:1], s[20:21]
.LBB1_12:                               ;   in Loop: Header=BB1_13 Depth=2
	s_or_b64 exec, exec, s[22:23]
	s_and_b64 s[0:1], exec, s[20:21]
	s_or_b64 s[18:19], s[0:1], s[18:19]
	s_andn2_b64 exec, exec, s[18:19]
	s_cbranch_execz .LBB1_2
.LBB1_13:                               ;   Parent Loop BB1_3 Depth=1
                                        ; =>  This Loop Header: Depth=2
                                        ;       Child Loop BB1_19 Depth 3
	v_cmp_lt_u64_e64 s[0:1], v[10:11], v[8:9]
	s_or_b64 s[20:21], s[20:21], exec
                                        ; implicit-def: $vgpr10_vgpr11
	s_and_saveexec_b64 s[22:23], s[0:1]
	s_cbranch_execz .LBB1_12
; %bb.14:                               ;   in Loop: Header=BB1_13 Depth=2
	v_or_b32_e32 v10, v6, v1
	v_mov_b32_e32 v11, v7
	v_cmp_eq_u64_e64 s[0:1], v[6:7], v[10:11]
	s_mov_b64 s[24:25], -1
	s_mov_b64 s[28:29], -1
	s_and_saveexec_b64 s[26:27], s[0:1]
	s_cbranch_execz .LBB1_24
; %bb.15:                               ;   in Loop: Header=BB1_13 Depth=2
	v_lshlrev_b32_e32 v12, 1, v1
	v_cmp_ne_u32_e64 s[0:1], 0, v12
	s_mov_b64 s[30:31], 0
                                        ; implicit-def: $vgpr10_vgpr11
                                        ; implicit-def: $vgpr1
	s_and_saveexec_b64 s[28:29], s[0:1]
	s_cbranch_execz .LBB1_23
; %bb.16:                               ;   in Loop: Header=BB1_13 Depth=2
                                        ; implicit-def: $sgpr34_sgpr35
                                        ; implicit-def: $sgpr36_sgpr37
                                        ; implicit-def: $sgpr38_sgpr39
	s_branch .LBB1_19
.LBB1_17:                               ;   in Loop: Header=BB1_19 Depth=3
	s_or_b64 exec, exec, s[46:47]
	s_andn2_b64 s[0:1], s[38:39], exec
	s_and_b64 s[38:39], s[44:45], exec
	s_or_b64 s[38:39], s[0:1], s[38:39]
	s_andn2_b64 s[0:1], s[36:37], exec
	s_and_b64 s[36:37], s[42:43], exec
	s_or_b64 s[36:37], s[0:1], s[36:37]
.LBB1_18:                               ;   in Loop: Header=BB1_19 Depth=3
	s_or_b64 exec, exec, s[40:41]
	s_xor_b64 s[0:1], s[38:39], -1
	s_and_b64 s[40:41], exec, s[36:37]
	s_or_b64 s[30:31], s[40:41], s[30:31]
	s_andn2_b64 s[34:35], s[34:35], exec
	s_and_b64 s[0:1], s[0:1], exec
	s_or_b64 s[34:35], s[34:35], s[0:1]
	s_andn2_b64 exec, exec, s[30:31]
	s_cbranch_execz .LBB1_22
.LBB1_19:                               ;   Parent Loop BB1_3 Depth=1
                                        ;     Parent Loop BB1_13 Depth=2
                                        ; =>    This Inner Loop Header: Depth=3
	v_mov_b32_e32 v1, v12
	s_or_b64 s[38:39], s[38:39], exec
	s_or_b64 s[36:37], s[36:37], exec
                                        ; implicit-def: $vgpr12
                                        ; implicit-def: $vgpr10_vgpr11
	s_and_saveexec_b64 s[40:41], vcc
	s_cbranch_execz .LBB1_18
; %bb.20:                               ;   in Loop: Header=BB1_19 Depth=3
	v_or_b32_e32 v10, v6, v1
	v_mov_b32_e32 v11, v7
	v_cmp_eq_u64_e64 s[0:1], v[6:7], v[10:11]
	s_mov_b64 s[42:43], -1
	s_mov_b64 s[44:45], 0
                                        ; implicit-def: $vgpr12
	s_and_saveexec_b64 s[46:47], s[0:1]
	s_cbranch_execz .LBB1_17
; %bb.21:                               ;   in Loop: Header=BB1_19 Depth=3
	v_lshlrev_b32_e32 v12, 1, v1
	v_cmp_eq_u32_e64 s[0:1], 0, v12
	s_mov_b64 s[44:45], exec
	s_orn2_b64 s[42:43], s[0:1], exec
	s_branch .LBB1_17
.LBB1_22:                               ;   in Loop: Header=BB1_13 Depth=2
	s_or_b64 exec, exec, s[30:31]
	s_and_b64 s[30:31], s[34:35], exec
.LBB1_23:                               ;   in Loop: Header=BB1_13 Depth=2
	s_or_b64 exec, exec, s[28:29]
	s_orn2_b64 s[28:29], s[30:31], exec
.LBB1_24:                               ;   in Loop: Header=BB1_13 Depth=2
	s_or_b64 exec, exec, s[26:27]
	s_and_saveexec_b64 s[26:27], s[28:29]
	s_cbranch_execz .LBB1_11
; %bb.25:                               ;   in Loop: Header=BB1_13 Depth=2
	v_cmp_lt_u64_e64 s[0:1], v[10:11], v[8:9]
	s_mov_b64 s[28:29], -1
	s_and_saveexec_b64 s[24:25], s[0:1]
	s_cbranch_execz .LBB1_10
; %bb.26:                               ;   in Loop: Header=BB1_13 Depth=2
	flat_load_dwordx2 v[12:13], v[10:11]
	s_waitcnt vmcnt(0) lgkmcnt(0)
	v_cmp_ne_u64_e64 s[0:1], v[12:13], v[2:3]
	s_and_saveexec_b64 s[28:29], s[0:1]
	s_cbranch_execz .LBB1_9
; %bb.27:                               ;   in Loop: Header=BB1_13 Depth=2
	s_mov_b64 s[34:35], exec
	v_mbcnt_lo_u32_b32 v14, s34, 0
	v_mbcnt_hi_u32_b32 v14, s35, v14
	v_cmp_eq_u32_e64 s[0:1], 0, v14
                                        ; implicit-def: $vgpr15
	s_and_saveexec_b64 s[30:31], s[0:1]
	s_cbranch_execz .LBB1_8
; %bb.28:                               ;   in Loop: Header=BB1_13 Depth=2
	s_bcnt1_i32_b64 s0, s[34:35]
	v_mov_b32_e32 v15, s0
	global_atomic_add v15, v3, v15, s[4:5] sc0
	s_branch .LBB1_8
.LBB1_29:
	s_endpgm
	.section	.rodata,"a",@progbits
	.p2align	6, 0x0
	.amdhsa_kernel _Z12kernel0_readPKcmPjPmS2_S2_S2_
		.amdhsa_group_segment_fixed_size 0
		.amdhsa_private_segment_fixed_size 0
		.amdhsa_kernarg_size 312
		.amdhsa_user_sgpr_count 2
		.amdhsa_user_sgpr_dispatch_ptr 0
		.amdhsa_user_sgpr_queue_ptr 0
		.amdhsa_user_sgpr_kernarg_segment_ptr 1
		.amdhsa_user_sgpr_dispatch_id 0
		.amdhsa_user_sgpr_kernarg_preload_length 0
		.amdhsa_user_sgpr_kernarg_preload_offset 0
		.amdhsa_user_sgpr_private_segment_size 0
		.amdhsa_uses_dynamic_stack 0
		.amdhsa_enable_private_segment 0
		.amdhsa_system_sgpr_workgroup_id_x 1
		.amdhsa_system_sgpr_workgroup_id_y 0
		.amdhsa_system_sgpr_workgroup_id_z 0
		.amdhsa_system_sgpr_workgroup_info 0
		.amdhsa_system_vgpr_workitem_id 0
		.amdhsa_next_free_vgpr 16
		.amdhsa_next_free_sgpr 49
		.amdhsa_accum_offset 16
		.amdhsa_reserve_vcc 1
		.amdhsa_float_round_mode_32 0
		.amdhsa_float_round_mode_16_64 0
		.amdhsa_float_denorm_mode_32 3
		.amdhsa_float_denorm_mode_16_64 3
		.amdhsa_dx10_clamp 1
		.amdhsa_ieee_mode 1
		.amdhsa_fp16_overflow 0
		.amdhsa_tg_split 0
		.amdhsa_exception_fp_ieee_invalid_op 0
		.amdhsa_exception_fp_denorm_src 0
		.amdhsa_exception_fp_ieee_div_zero 0
		.amdhsa_exception_fp_ieee_overflow 0
		.amdhsa_exception_fp_ieee_underflow 0
		.amdhsa_exception_fp_ieee_inexact 0
		.amdhsa_exception_int_div_zero 0
	.end_amdhsa_kernel
	.text
.Lfunc_end1:
	.size	_Z12kernel0_readPKcmPjPmS2_S2_S2_, .Lfunc_end1-_Z12kernel0_readPKcmPjPmS2_S2_S2_
                                        ; -- End function
	.set _Z12kernel0_readPKcmPjPmS2_S2_S2_.num_vgpr, 16
	.set _Z12kernel0_readPKcmPjPmS2_S2_S2_.num_agpr, 0
	.set _Z12kernel0_readPKcmPjPmS2_S2_S2_.numbered_sgpr, 49
	.set _Z12kernel0_readPKcmPjPmS2_S2_S2_.num_named_barrier, 0
	.set _Z12kernel0_readPKcmPjPmS2_S2_S2_.private_seg_size, 0
	.set _Z12kernel0_readPKcmPjPmS2_S2_S2_.uses_vcc, 1
	.set _Z12kernel0_readPKcmPjPmS2_S2_S2_.uses_flat_scratch, 0
	.set _Z12kernel0_readPKcmPjPmS2_S2_S2_.has_dyn_sized_stack, 0
	.set _Z12kernel0_readPKcmPjPmS2_S2_S2_.has_recursion, 0
	.set _Z12kernel0_readPKcmPjPmS2_S2_S2_.has_indirect_call, 0
	.section	.AMDGPU.csdata,"",@progbits
; Kernel info:
; codeLenInByte = 888
; TotalNumSgprs: 55
; NumVgprs: 16
; NumAgprs: 0
; TotalNumVgprs: 16
; ScratchSize: 0
; MemoryBound: 0
; FloatMode: 240
; IeeeMode: 1
; LDSByteSize: 0 bytes/workgroup (compile time only)
; SGPRBlocks: 6
; VGPRBlocks: 1
; NumSGPRsForWavesPerEU: 55
; NumVGPRsForWavesPerEU: 16
; AccumOffset: 16
; Occupancy: 8
; WaveLimiterHint : 0
; COMPUTE_PGM_RSRC2:SCRATCH_EN: 0
; COMPUTE_PGM_RSRC2:USER_SGPR: 2
; COMPUTE_PGM_RSRC2:TRAP_HANDLER: 0
; COMPUTE_PGM_RSRC2:TGID_X_EN: 1
; COMPUTE_PGM_RSRC2:TGID_Y_EN: 0
; COMPUTE_PGM_RSRC2:TGID_Z_EN: 0
; COMPUTE_PGM_RSRC2:TIDIG_COMP_CNT: 0
; COMPUTE_PGM_RSRC3_GFX90A:ACCUM_OFFSET: 3
; COMPUTE_PGM_RSRC3_GFX90A:TG_SPLIT: 0
	.text
	.protected	_Z13kernel1_writePcm    ; -- Begin function _Z13kernel1_writePcm
	.globl	_Z13kernel1_writePcm
	.p2align	8
	.type	_Z13kernel1_writePcm,@function
_Z13kernel1_writePcm:                   ; @_Z13kernel1_writePcm
; %bb.0:
	s_load_dword s3, s[0:1], 0x1c
	s_load_dwordx4 s[4:7], s[0:1], 0x0
	s_add_u32 s8, s0, 16
	s_addc_u32 s9, s1, 0
	s_waitcnt lgkmcnt(0)
	s_and_b32 s3, s3, 0xffff
	s_mul_i32 s0, s2, s3
	v_add_u32_e32 v2, s0, v0
	s_lshr_b64 s[0:1], s[6:7], 3
	v_ashrrev_i32_e32 v3, 31, v2
	v_cmp_gt_u64_e32 vcc, s[0:1], v[2:3]
	s_and_saveexec_b64 s[6:7], vcc
	s_cbranch_execz .LBB2_3
; %bb.1:
	s_load_dword s7, s[8:9], 0x0
	s_waitcnt lgkmcnt(0)
	s_add_i32 s2, s2, s7
	s_mul_i32 s6, s7, s3
	s_mul_i32 s2, s2, s3
	s_ashr_i32 s7, s6, 31
	v_add_u32_e32 v0, s2, v0
	v_mov_b32_e32 v1, s7
	v_ashrrev_i32_e32 v4, 31, v0
	v_subrev_co_u32_e32 v0, vcc, s6, v0
	s_mov_b64 s[2:3], 0
	s_nop 0
	v_subb_co_u32_e32 v1, vcc, v4, v1, vcc
.LBB2_2:                                ; =>This Inner Loop Header: Depth=1
	v_lshl_add_u64 v[0:1], v[0:1], 0, s[6:7]
	v_lshl_add_u64 v[2:3], v[2:3], 3, s[4:5]
	v_cmp_le_u64_e32 vcc, s[0:1], v[0:1]
	global_store_dwordx2 v[2:3], v[2:3], off
	v_ashrrev_i32_e32 v3, 31, v0
	s_or_b64 s[2:3], vcc, s[2:3]
	v_mov_b32_e32 v2, v0
	s_andn2_b64 exec, exec, s[2:3]
	s_cbranch_execnz .LBB2_2
.LBB2_3:
	s_endpgm
	.section	.rodata,"a",@progbits
	.p2align	6, 0x0
	.amdhsa_kernel _Z13kernel1_writePcm
		.amdhsa_group_segment_fixed_size 0
		.amdhsa_private_segment_fixed_size 0
		.amdhsa_kernarg_size 272
		.amdhsa_user_sgpr_count 2
		.amdhsa_user_sgpr_dispatch_ptr 0
		.amdhsa_user_sgpr_queue_ptr 0
		.amdhsa_user_sgpr_kernarg_segment_ptr 1
		.amdhsa_user_sgpr_dispatch_id 0
		.amdhsa_user_sgpr_kernarg_preload_length 0
		.amdhsa_user_sgpr_kernarg_preload_offset 0
		.amdhsa_user_sgpr_private_segment_size 0
		.amdhsa_uses_dynamic_stack 0
		.amdhsa_enable_private_segment 0
		.amdhsa_system_sgpr_workgroup_id_x 1
		.amdhsa_system_sgpr_workgroup_id_y 0
		.amdhsa_system_sgpr_workgroup_id_z 0
		.amdhsa_system_sgpr_workgroup_info 0
		.amdhsa_system_vgpr_workitem_id 0
		.amdhsa_next_free_vgpr 5
		.amdhsa_next_free_sgpr 10
		.amdhsa_accum_offset 8
		.amdhsa_reserve_vcc 1
		.amdhsa_float_round_mode_32 0
		.amdhsa_float_round_mode_16_64 0
		.amdhsa_float_denorm_mode_32 3
		.amdhsa_float_denorm_mode_16_64 3
		.amdhsa_dx10_clamp 1
		.amdhsa_ieee_mode 1
		.amdhsa_fp16_overflow 0
		.amdhsa_tg_split 0
		.amdhsa_exception_fp_ieee_invalid_op 0
		.amdhsa_exception_fp_denorm_src 0
		.amdhsa_exception_fp_ieee_div_zero 0
		.amdhsa_exception_fp_ieee_overflow 0
		.amdhsa_exception_fp_ieee_underflow 0
		.amdhsa_exception_fp_ieee_inexact 0
		.amdhsa_exception_int_div_zero 0
	.end_amdhsa_kernel
	.text
.Lfunc_end2:
	.size	_Z13kernel1_writePcm, .Lfunc_end2-_Z13kernel1_writePcm
                                        ; -- End function
	.set _Z13kernel1_writePcm.num_vgpr, 5
	.set _Z13kernel1_writePcm.num_agpr, 0
	.set _Z13kernel1_writePcm.numbered_sgpr, 10
	.set _Z13kernel1_writePcm.num_named_barrier, 0
	.set _Z13kernel1_writePcm.private_seg_size, 0
	.set _Z13kernel1_writePcm.uses_vcc, 1
	.set _Z13kernel1_writePcm.uses_flat_scratch, 0
	.set _Z13kernel1_writePcm.has_dyn_sized_stack, 0
	.set _Z13kernel1_writePcm.has_recursion, 0
	.set _Z13kernel1_writePcm.has_indirect_call, 0
	.section	.AMDGPU.csdata,"",@progbits
; Kernel info:
; codeLenInByte = 172
; TotalNumSgprs: 16
; NumVgprs: 5
; NumAgprs: 0
; TotalNumVgprs: 5
; ScratchSize: 0
; MemoryBound: 0
; FloatMode: 240
; IeeeMode: 1
; LDSByteSize: 0 bytes/workgroup (compile time only)
; SGPRBlocks: 1
; VGPRBlocks: 0
; NumSGPRsForWavesPerEU: 16
; NumVGPRsForWavesPerEU: 5
; AccumOffset: 8
; Occupancy: 8
; WaveLimiterHint : 0
; COMPUTE_PGM_RSRC2:SCRATCH_EN: 0
; COMPUTE_PGM_RSRC2:USER_SGPR: 2
; COMPUTE_PGM_RSRC2:TRAP_HANDLER: 0
; COMPUTE_PGM_RSRC2:TGID_X_EN: 1
; COMPUTE_PGM_RSRC2:TGID_Y_EN: 0
; COMPUTE_PGM_RSRC2:TGID_Z_EN: 0
; COMPUTE_PGM_RSRC2:TIDIG_COMP_CNT: 0
; COMPUTE_PGM_RSRC3_GFX90A:ACCUM_OFFSET: 1
; COMPUTE_PGM_RSRC3_GFX90A:TG_SPLIT: 0
	.text
	.protected	_Z12kernel1_readPKcmPjPmS2_S2_S2_ ; -- Begin function _Z12kernel1_readPKcmPjPmS2_S2_S2_
	.globl	_Z12kernel1_readPKcmPjPmS2_S2_S2_
	.p2align	8
	.type	_Z12kernel1_readPKcmPjPmS2_S2_S2_,@function
_Z12kernel1_readPKcmPjPmS2_S2_S2_:      ; @_Z12kernel1_readPKcmPjPmS2_S2_S2_
; %bb.0:
	s_load_dword s3, s[0:1], 0x44
	s_load_dwordx2 s[4:5], s[0:1], 0x8
	s_add_u32 s18, s0, 56
	s_addc_u32 s19, s1, 0
	s_waitcnt lgkmcnt(0)
	s_and_b32 s3, s3, 0xffff
	s_mul_i32 s6, s2, s3
	v_add_u32_e32 v2, s6, v0
	s_lshr_b64 s[12:13], s[4:5], 3
	v_ashrrev_i32_e32 v3, 31, v2
	v_cmp_gt_u64_e32 vcc, s[12:13], v[2:3]
	s_and_saveexec_b64 s[4:5], vcc
	s_cbranch_execz .LBB3_7
; %bb.1:
	s_load_dword s20, s[18:19], 0x0
	s_load_dwordx2 s[14:15], s[0:1], 0x0
	s_load_dwordx8 s[4:11], s[0:1], 0x10
	s_load_dwordx2 s[16:17], s[0:1], 0x30
	v_mov_b32_e32 v6, 0
	s_waitcnt lgkmcnt(0)
	s_add_i32 s0, s2, s20
	s_mul_i32 s0, s0, s3
	s_mul_i32 s22, s20, s3
	v_add_u32_e32 v0, s0, v0
	s_mov_b64 s[0:1], 0
	s_mov_b32 s23, 0xcccccccd
	s_branch .LBB3_4
.LBB3_2:                                ;   in Loop: Header=BB3_4 Depth=1
	s_or_b64 exec, exec, s[18:19]
	s_waitcnt vmcnt(0)
	v_readfirstlane_b32 s18, v7
	s_nop 1
	v_add_u32_e32 v1, s18, v1
	v_mul_hi_u32 v7, v1, s23
	v_lshrrev_b32_e32 v7, 3, v7
	v_mul_lo_u32 v7, v7, 10
	v_sub_u32_e32 v1, v1, v7
	v_lshlrev_b32_e32 v1, 3, v1
	global_store_dwordx2 v1, v[4:5], s[6:7]
	global_store_dwordx2 v1, v[4:5], s[8:9]
	;; [unrolled: 1-line block ×4, first 2 shown]
.LBB3_3:                                ;   in Loop: Header=BB3_4 Depth=1
	s_or_b64 exec, exec, s[2:3]
	v_ashrrev_i32_e32 v1, 31, v0
	v_cmp_le_u64_e32 vcc, s[12:13], v[0:1]
	v_mov_b64_e32 v[2:3], v[0:1]
	s_or_b64 s[0:1], vcc, s[0:1]
	v_add_u32_e32 v0, s22, v0
	s_andn2_b64 exec, exec, s[0:1]
	s_cbranch_execz .LBB3_7
.LBB3_4:                                ; =>This Inner Loop Header: Depth=1
	v_lshl_add_u64 v[4:5], v[2:3], 3, s[14:15]
	global_load_dwordx2 v[2:3], v[4:5], off
	s_waitcnt vmcnt(0)
	v_cmp_ne_u64_e32 vcc, v[2:3], v[4:5]
	s_and_saveexec_b64 s[2:3], vcc
	s_cbranch_execz .LBB3_3
; %bb.5:                                ;   in Loop: Header=BB3_4 Depth=1
	s_mov_b64 s[20:21], exec
	v_mbcnt_lo_u32_b32 v1, s20, 0
	v_mbcnt_hi_u32_b32 v1, s21, v1
	v_cmp_eq_u32_e32 vcc, 0, v1
                                        ; implicit-def: $vgpr7
	s_and_saveexec_b64 s[18:19], vcc
	s_cbranch_execz .LBB3_2
; %bb.6:                                ;   in Loop: Header=BB3_4 Depth=1
	s_bcnt1_i32_b64 s20, s[20:21]
	v_mov_b32_e32 v7, s20
	global_atomic_add v7, v6, v7, s[4:5] sc0
	s_branch .LBB3_2
.LBB3_7:
	s_endpgm
	.section	.rodata,"a",@progbits
	.p2align	6, 0x0
	.amdhsa_kernel _Z12kernel1_readPKcmPjPmS2_S2_S2_
		.amdhsa_group_segment_fixed_size 0
		.amdhsa_private_segment_fixed_size 0
		.amdhsa_kernarg_size 312
		.amdhsa_user_sgpr_count 2
		.amdhsa_user_sgpr_dispatch_ptr 0
		.amdhsa_user_sgpr_queue_ptr 0
		.amdhsa_user_sgpr_kernarg_segment_ptr 1
		.amdhsa_user_sgpr_dispatch_id 0
		.amdhsa_user_sgpr_kernarg_preload_length 0
		.amdhsa_user_sgpr_kernarg_preload_offset 0
		.amdhsa_user_sgpr_private_segment_size 0
		.amdhsa_uses_dynamic_stack 0
		.amdhsa_enable_private_segment 0
		.amdhsa_system_sgpr_workgroup_id_x 1
		.amdhsa_system_sgpr_workgroup_id_y 0
		.amdhsa_system_sgpr_workgroup_id_z 0
		.amdhsa_system_sgpr_workgroup_info 0
		.amdhsa_system_vgpr_workitem_id 0
		.amdhsa_next_free_vgpr 8
		.amdhsa_next_free_sgpr 24
		.amdhsa_accum_offset 8
		.amdhsa_reserve_vcc 1
		.amdhsa_float_round_mode_32 0
		.amdhsa_float_round_mode_16_64 0
		.amdhsa_float_denorm_mode_32 3
		.amdhsa_float_denorm_mode_16_64 3
		.amdhsa_dx10_clamp 1
		.amdhsa_ieee_mode 1
		.amdhsa_fp16_overflow 0
		.amdhsa_tg_split 0
		.amdhsa_exception_fp_ieee_invalid_op 0
		.amdhsa_exception_fp_denorm_src 0
		.amdhsa_exception_fp_ieee_div_zero 0
		.amdhsa_exception_fp_ieee_overflow 0
		.amdhsa_exception_fp_ieee_underflow 0
		.amdhsa_exception_fp_ieee_inexact 0
		.amdhsa_exception_int_div_zero 0
	.end_amdhsa_kernel
	.text
.Lfunc_end3:
	.size	_Z12kernel1_readPKcmPjPmS2_S2_S2_, .Lfunc_end3-_Z12kernel1_readPKcmPjPmS2_S2_S2_
                                        ; -- End function
	.set _Z12kernel1_readPKcmPjPmS2_S2_S2_.num_vgpr, 8
	.set _Z12kernel1_readPKcmPjPmS2_S2_S2_.num_agpr, 0
	.set _Z12kernel1_readPKcmPjPmS2_S2_S2_.numbered_sgpr, 24
	.set _Z12kernel1_readPKcmPjPmS2_S2_S2_.num_named_barrier, 0
	.set _Z12kernel1_readPKcmPjPmS2_S2_S2_.private_seg_size, 0
	.set _Z12kernel1_readPKcmPjPmS2_S2_S2_.uses_vcc, 1
	.set _Z12kernel1_readPKcmPjPmS2_S2_S2_.uses_flat_scratch, 0
	.set _Z12kernel1_readPKcmPjPmS2_S2_S2_.has_dyn_sized_stack, 0
	.set _Z12kernel1_readPKcmPjPmS2_S2_S2_.has_recursion, 0
	.set _Z12kernel1_readPKcmPjPmS2_S2_S2_.has_indirect_call, 0
	.section	.AMDGPU.csdata,"",@progbits
; Kernel info:
; codeLenInByte = 336
; TotalNumSgprs: 30
; NumVgprs: 8
; NumAgprs: 0
; TotalNumVgprs: 8
; ScratchSize: 0
; MemoryBound: 0
; FloatMode: 240
; IeeeMode: 1
; LDSByteSize: 0 bytes/workgroup (compile time only)
; SGPRBlocks: 3
; VGPRBlocks: 0
; NumSGPRsForWavesPerEU: 30
; NumVGPRsForWavesPerEU: 8
; AccumOffset: 8
; Occupancy: 8
; WaveLimiterHint : 0
; COMPUTE_PGM_RSRC2:SCRATCH_EN: 0
; COMPUTE_PGM_RSRC2:USER_SGPR: 2
; COMPUTE_PGM_RSRC2:TRAP_HANDLER: 0
; COMPUTE_PGM_RSRC2:TGID_X_EN: 1
; COMPUTE_PGM_RSRC2:TGID_Y_EN: 0
; COMPUTE_PGM_RSRC2:TGID_Z_EN: 0
; COMPUTE_PGM_RSRC2:TIDIG_COMP_CNT: 0
; COMPUTE_PGM_RSRC3_GFX90A:ACCUM_OFFSET: 1
; COMPUTE_PGM_RSRC3_GFX90A:TG_SPLIT: 0
	.text
	.protected	_Z12kernel_writePcmm    ; -- Begin function _Z12kernel_writePcmm
	.globl	_Z12kernel_writePcmm
	.p2align	8
	.type	_Z12kernel_writePcmm,@function
_Z12kernel_writePcmm:                   ; @_Z12kernel_writePcmm
; %bb.0:
	s_load_dword s3, s[0:1], 0x24
	s_load_dwordx4 s[4:7], s[0:1], 0x0
	s_add_u32 s8, s0, 24
	s_addc_u32 s9, s1, 0
	s_waitcnt lgkmcnt(0)
	s_and_b32 s3, s3, 0xffff
	s_mul_i32 s10, s2, s3
	v_add_u32_e32 v2, s10, v0
	s_lshr_b64 s[6:7], s[6:7], 3
	v_ashrrev_i32_e32 v3, 31, v2
	v_cmp_gt_u64_e32 vcc, s[6:7], v[2:3]
	s_and_saveexec_b64 s[10:11], vcc
	s_cbranch_execz .LBB4_3
; %bb.1:
	s_load_dword s12, s[8:9], 0x0
	s_load_dwordx2 s[10:11], s[0:1], 0x10
	s_waitcnt lgkmcnt(0)
	s_add_i32 s1, s2, s12
	s_mul_i32 s0, s12, s3
	s_mul_i32 s2, s1, s3
	s_ashr_i32 s1, s0, 31
	v_add_u32_e32 v0, s2, v0
	v_mov_b32_e32 v1, s1
	v_ashrrev_i32_e32 v4, 31, v0
	v_subrev_co_u32_e32 v0, vcc, s0, v0
	s_mov_b64 s[2:3], 0
	s_nop 0
	v_subb_co_u32_e32 v1, vcc, v4, v1, vcc
	v_mov_b64_e32 v[4:5], s[10:11]
.LBB4_2:                                ; =>This Inner Loop Header: Depth=1
	v_lshl_add_u64 v[0:1], v[0:1], 0, s[0:1]
	v_lshl_add_u64 v[2:3], v[2:3], 3, s[4:5]
	v_cmp_le_u64_e32 vcc, s[6:7], v[0:1]
	global_store_dwordx2 v[2:3], v[4:5], off
	v_ashrrev_i32_e32 v3, 31, v0
	s_or_b64 s[2:3], vcc, s[2:3]
	v_mov_b32_e32 v2, v0
	s_andn2_b64 exec, exec, s[2:3]
	s_cbranch_execnz .LBB4_2
.LBB4_3:
	s_endpgm
	.section	.rodata,"a",@progbits
	.p2align	6, 0x0
	.amdhsa_kernel _Z12kernel_writePcmm
		.amdhsa_group_segment_fixed_size 0
		.amdhsa_private_segment_fixed_size 0
		.amdhsa_kernarg_size 280
		.amdhsa_user_sgpr_count 2
		.amdhsa_user_sgpr_dispatch_ptr 0
		.amdhsa_user_sgpr_queue_ptr 0
		.amdhsa_user_sgpr_kernarg_segment_ptr 1
		.amdhsa_user_sgpr_dispatch_id 0
		.amdhsa_user_sgpr_kernarg_preload_length 0
		.amdhsa_user_sgpr_kernarg_preload_offset 0
		.amdhsa_user_sgpr_private_segment_size 0
		.amdhsa_uses_dynamic_stack 0
		.amdhsa_enable_private_segment 0
		.amdhsa_system_sgpr_workgroup_id_x 1
		.amdhsa_system_sgpr_workgroup_id_y 0
		.amdhsa_system_sgpr_workgroup_id_z 0
		.amdhsa_system_sgpr_workgroup_info 0
		.amdhsa_system_vgpr_workitem_id 0
		.amdhsa_next_free_vgpr 6
		.amdhsa_next_free_sgpr 13
		.amdhsa_accum_offset 8
		.amdhsa_reserve_vcc 1
		.amdhsa_float_round_mode_32 0
		.amdhsa_float_round_mode_16_64 0
		.amdhsa_float_denorm_mode_32 3
		.amdhsa_float_denorm_mode_16_64 3
		.amdhsa_dx10_clamp 1
		.amdhsa_ieee_mode 1
		.amdhsa_fp16_overflow 0
		.amdhsa_tg_split 0
		.amdhsa_exception_fp_ieee_invalid_op 0
		.amdhsa_exception_fp_denorm_src 0
		.amdhsa_exception_fp_ieee_div_zero 0
		.amdhsa_exception_fp_ieee_overflow 0
		.amdhsa_exception_fp_ieee_underflow 0
		.amdhsa_exception_fp_ieee_inexact 0
		.amdhsa_exception_int_div_zero 0
	.end_amdhsa_kernel
	.text
.Lfunc_end4:
	.size	_Z12kernel_writePcmm, .Lfunc_end4-_Z12kernel_writePcmm
                                        ; -- End function
	.set _Z12kernel_writePcmm.num_vgpr, 6
	.set _Z12kernel_writePcmm.num_agpr, 0
	.set _Z12kernel_writePcmm.numbered_sgpr, 13
	.set _Z12kernel_writePcmm.num_named_barrier, 0
	.set _Z12kernel_writePcmm.private_seg_size, 0
	.set _Z12kernel_writePcmm.uses_vcc, 1
	.set _Z12kernel_writePcmm.uses_flat_scratch, 0
	.set _Z12kernel_writePcmm.has_dyn_sized_stack, 0
	.set _Z12kernel_writePcmm.has_recursion, 0
	.set _Z12kernel_writePcmm.has_indirect_call, 0
	.section	.AMDGPU.csdata,"",@progbits
; Kernel info:
; codeLenInByte = 184
; TotalNumSgprs: 19
; NumVgprs: 6
; NumAgprs: 0
; TotalNumVgprs: 6
; ScratchSize: 0
; MemoryBound: 0
; FloatMode: 240
; IeeeMode: 1
; LDSByteSize: 0 bytes/workgroup (compile time only)
; SGPRBlocks: 2
; VGPRBlocks: 0
; NumSGPRsForWavesPerEU: 19
; NumVGPRsForWavesPerEU: 6
; AccumOffset: 8
; Occupancy: 8
; WaveLimiterHint : 0
; COMPUTE_PGM_RSRC2:SCRATCH_EN: 0
; COMPUTE_PGM_RSRC2:USER_SGPR: 2
; COMPUTE_PGM_RSRC2:TRAP_HANDLER: 0
; COMPUTE_PGM_RSRC2:TGID_X_EN: 1
; COMPUTE_PGM_RSRC2:TGID_Y_EN: 0
; COMPUTE_PGM_RSRC2:TGID_Z_EN: 0
; COMPUTE_PGM_RSRC2:TIDIG_COMP_CNT: 0
; COMPUTE_PGM_RSRC3_GFX90A:ACCUM_OFFSET: 1
; COMPUTE_PGM_RSRC3_GFX90A:TG_SPLIT: 0
	.text
	.protected	_Z17kernel_read_writePcmmmPjPmS1_S1_S1_ ; -- Begin function _Z17kernel_read_writePcmmmPjPmS1_S1_S1_
	.globl	_Z17kernel_read_writePcmmmPjPmS1_S1_S1_
	.p2align	8
	.type	_Z17kernel_read_writePcmmmPjPmS1_S1_S1_,@function
_Z17kernel_read_writePcmmmPjPmS1_S1_S1_: ; @_Z17kernel_read_writePcmmmPjPmS1_S1_S1_
; %bb.0:
	s_load_dword s3, s[0:1], 0x54
	s_load_dwordx4 s[12:15], s[0:1], 0x8
	s_add_u32 s22, s0, 0x48
	s_addc_u32 s23, s1, 0
	s_waitcnt lgkmcnt(0)
	s_and_b32 s3, s3, 0xffff
	s_mul_i32 s4, s2, s3
	v_add_u32_e32 v2, s4, v0
	s_lshr_b64 s[12:13], s[12:13], 3
	v_ashrrev_i32_e32 v3, 31, v2
	v_cmp_gt_u64_e32 vcc, s[12:13], v[2:3]
	s_and_saveexec_b64 s[4:5], vcc
	s_cbranch_execz .LBB5_7
; %bb.1:
	s_load_dword s25, s[22:23], 0x0
	s_load_dwordx4 s[16:19], s[0:1], 0x38
	s_load_dwordx2 s[20:21], s[0:1], 0x0
	s_load_dwordx8 s[4:11], s[0:1], 0x18
	v_mov_b32_e32 v6, 0
	s_waitcnt lgkmcnt(0)
	s_add_i32 s0, s2, s25
	s_mul_i32 s0, s0, s3
	s_mul_i32 s24, s25, s3
	v_add_u32_e32 v0, s0, v0
	s_mov_b64 s[0:1], 0
	s_mov_b32 s25, 0xcccccccd
	v_mov_b64_e32 v[8:9], s[14:15]
	v_mov_b64_e32 v[10:11], s[4:5]
	s_branch .LBB5_4
.LBB5_2:                                ;   in Loop: Header=BB5_4 Depth=1
	s_or_b64 exec, exec, s[4:5]
	s_waitcnt vmcnt(0)
	v_readfirstlane_b32 s4, v7
	s_nop 1
	v_add_u32_e32 v1, s4, v1
	v_mul_hi_u32 v7, v1, s25
	v_lshrrev_b32_e32 v7, 3, v7
	v_mul_lo_u32 v7, v7, 10
	v_sub_u32_e32 v1, v1, v7
	v_lshlrev_b32_e32 v1, 3, v1
	global_store_dwordx2 v1, v[2:3], s[8:9]
	global_store_dwordx2 v1, v[8:9], s[10:11]
	global_store_dwordx2 v1, v[4:5], s[16:17]
	global_store_dwordx2 v1, v[4:5], s[18:19]
.LBB5_3:                                ;   in Loop: Header=BB5_4 Depth=1
	s_or_b64 exec, exec, s[2:3]
	v_ashrrev_i32_e32 v1, 31, v0
	v_cmp_le_u64_e32 vcc, s[12:13], v[0:1]
	global_store_dwordx2 v[2:3], v[10:11], off
	v_mov_b64_e32 v[2:3], v[0:1]
	s_or_b64 s[0:1], vcc, s[0:1]
	v_add_u32_e32 v0, s24, v0
	s_andn2_b64 exec, exec, s[0:1]
	s_cbranch_execz .LBB5_7
.LBB5_4:                                ; =>This Inner Loop Header: Depth=1
	v_lshl_add_u64 v[2:3], v[2:3], 3, s[20:21]
	global_load_dwordx2 v[4:5], v[2:3], off
	s_waitcnt vmcnt(0)
	v_cmp_ne_u64_e32 vcc, s[14:15], v[4:5]
	s_and_saveexec_b64 s[2:3], vcc
	s_cbranch_execz .LBB5_3
; %bb.5:                                ;   in Loop: Header=BB5_4 Depth=1
	s_mov_b64 s[22:23], exec
	v_mbcnt_lo_u32_b32 v1, s22, 0
	v_mbcnt_hi_u32_b32 v1, s23, v1
	v_cmp_eq_u32_e32 vcc, 0, v1
                                        ; implicit-def: $vgpr7
	s_and_saveexec_b64 s[4:5], vcc
	s_cbranch_execz .LBB5_2
; %bb.6:                                ;   in Loop: Header=BB5_4 Depth=1
	s_bcnt1_i32_b64 s22, s[22:23]
	v_mov_b32_e32 v7, s22
	global_atomic_add v7, v6, v7, s[6:7] sc0
	s_branch .LBB5_2
.LBB5_7:
	s_endpgm
	.section	.rodata,"a",@progbits
	.p2align	6, 0x0
	.amdhsa_kernel _Z17kernel_read_writePcmmmPjPmS1_S1_S1_
		.amdhsa_group_segment_fixed_size 0
		.amdhsa_private_segment_fixed_size 0
		.amdhsa_kernarg_size 328
		.amdhsa_user_sgpr_count 2
		.amdhsa_user_sgpr_dispatch_ptr 0
		.amdhsa_user_sgpr_queue_ptr 0
		.amdhsa_user_sgpr_kernarg_segment_ptr 1
		.amdhsa_user_sgpr_dispatch_id 0
		.amdhsa_user_sgpr_kernarg_preload_length 0
		.amdhsa_user_sgpr_kernarg_preload_offset 0
		.amdhsa_user_sgpr_private_segment_size 0
		.amdhsa_uses_dynamic_stack 0
		.amdhsa_enable_private_segment 0
		.amdhsa_system_sgpr_workgroup_id_x 1
		.amdhsa_system_sgpr_workgroup_id_y 0
		.amdhsa_system_sgpr_workgroup_id_z 0
		.amdhsa_system_sgpr_workgroup_info 0
		.amdhsa_system_vgpr_workitem_id 0
		.amdhsa_next_free_vgpr 12
		.amdhsa_next_free_sgpr 26
		.amdhsa_accum_offset 12
		.amdhsa_reserve_vcc 1
		.amdhsa_float_round_mode_32 0
		.amdhsa_float_round_mode_16_64 0
		.amdhsa_float_denorm_mode_32 3
		.amdhsa_float_denorm_mode_16_64 3
		.amdhsa_dx10_clamp 1
		.amdhsa_ieee_mode 1
		.amdhsa_fp16_overflow 0
		.amdhsa_tg_split 0
		.amdhsa_exception_fp_ieee_invalid_op 0
		.amdhsa_exception_fp_denorm_src 0
		.amdhsa_exception_fp_ieee_div_zero 0
		.amdhsa_exception_fp_ieee_overflow 0
		.amdhsa_exception_fp_ieee_underflow 0
		.amdhsa_exception_fp_ieee_inexact 0
		.amdhsa_exception_int_div_zero 0
	.end_amdhsa_kernel
	.text
.Lfunc_end5:
	.size	_Z17kernel_read_writePcmmmPjPmS1_S1_S1_, .Lfunc_end5-_Z17kernel_read_writePcmmmPjPmS1_S1_S1_
                                        ; -- End function
	.set _Z17kernel_read_writePcmmmPjPmS1_S1_S1_.num_vgpr, 12
	.set _Z17kernel_read_writePcmmmPjPmS1_S1_S1_.num_agpr, 0
	.set _Z17kernel_read_writePcmmmPjPmS1_S1_S1_.numbered_sgpr, 26
	.set _Z17kernel_read_writePcmmmPjPmS1_S1_S1_.num_named_barrier, 0
	.set _Z17kernel_read_writePcmmmPjPmS1_S1_S1_.private_seg_size, 0
	.set _Z17kernel_read_writePcmmmPjPmS1_S1_S1_.uses_vcc, 1
	.set _Z17kernel_read_writePcmmmPjPmS1_S1_S1_.uses_flat_scratch, 0
	.set _Z17kernel_read_writePcmmmPjPmS1_S1_S1_.has_dyn_sized_stack, 0
	.set _Z17kernel_read_writePcmmmPjPmS1_S1_S1_.has_recursion, 0
	.set _Z17kernel_read_writePcmmmPjPmS1_S1_S1_.has_indirect_call, 0
	.section	.AMDGPU.csdata,"",@progbits
; Kernel info:
; codeLenInByte = 356
; TotalNumSgprs: 32
; NumVgprs: 12
; NumAgprs: 0
; TotalNumVgprs: 12
; ScratchSize: 0
; MemoryBound: 0
; FloatMode: 240
; IeeeMode: 1
; LDSByteSize: 0 bytes/workgroup (compile time only)
; SGPRBlocks: 3
; VGPRBlocks: 1
; NumSGPRsForWavesPerEU: 32
; NumVGPRsForWavesPerEU: 12
; AccumOffset: 12
; Occupancy: 8
; WaveLimiterHint : 0
; COMPUTE_PGM_RSRC2:SCRATCH_EN: 0
; COMPUTE_PGM_RSRC2:USER_SGPR: 2
; COMPUTE_PGM_RSRC2:TRAP_HANDLER: 0
; COMPUTE_PGM_RSRC2:TGID_X_EN: 1
; COMPUTE_PGM_RSRC2:TGID_Y_EN: 0
; COMPUTE_PGM_RSRC2:TGID_Z_EN: 0
; COMPUTE_PGM_RSRC2:TIDIG_COMP_CNT: 0
; COMPUTE_PGM_RSRC3_GFX90A:ACCUM_OFFSET: 2
; COMPUTE_PGM_RSRC3_GFX90A:TG_SPLIT: 0
	.text
	.protected	_Z11kernel_readPKcmmPjPmS2_S2_S2_ ; -- Begin function _Z11kernel_readPKcmmPjPmS2_S2_S2_
	.globl	_Z11kernel_readPKcmmPjPmS2_S2_S2_
	.p2align	8
	.type	_Z11kernel_readPKcmmPjPmS2_S2_S2_,@function
_Z11kernel_readPKcmmPjPmS2_S2_S2_:      ; @_Z11kernel_readPKcmmPjPmS2_S2_S2_
; %bb.0:
	s_load_dword s3, s[0:1], 0x4c
	s_load_dwordx4 s[12:15], s[0:1], 0x8
	s_add_u32 s20, s0, 64
	s_addc_u32 s21, s1, 0
	s_waitcnt lgkmcnt(0)
	s_and_b32 s3, s3, 0xffff
	s_mul_i32 s4, s2, s3
	v_add_u32_e32 v2, s4, v0
	s_lshr_b64 s[12:13], s[12:13], 3
	v_ashrrev_i32_e32 v3, 31, v2
	v_cmp_gt_u64_e32 vcc, s[12:13], v[2:3]
	s_and_saveexec_b64 s[4:5], vcc
	s_cbranch_execz .LBB6_7
; %bb.1:
	s_load_dword s22, s[20:21], 0x0
	s_load_dwordx2 s[16:17], s[0:1], 0x0
	s_load_dwordx8 s[4:11], s[0:1], 0x18
	s_load_dwordx2 s[18:19], s[0:1], 0x38
	v_mov_b32_e32 v6, 0
	s_waitcnt lgkmcnt(0)
	s_add_i32 s0, s2, s22
	s_mul_i32 s0, s0, s3
	s_mul_i32 s24, s22, s3
	v_add_u32_e32 v0, s0, v0
	s_mov_b64 s[0:1], 0
	s_mov_b32 s25, 0xcccccccd
	v_mov_b64_e32 v[8:9], s[14:15]
	s_branch .LBB6_4
.LBB6_2:                                ;   in Loop: Header=BB6_4 Depth=1
	s_or_b64 exec, exec, s[20:21]
	s_waitcnt vmcnt(0)
	v_readfirstlane_b32 s20, v7
	s_nop 1
	v_add_u32_e32 v1, s20, v1
	v_mul_hi_u32 v7, v1, s25
	v_lshrrev_b32_e32 v7, 3, v7
	v_mul_lo_u32 v7, v7, 10
	v_sub_u32_e32 v1, v1, v7
	v_lshlrev_b32_e32 v1, 3, v1
	global_store_dwordx2 v1, v[4:5], s[6:7]
	global_store_dwordx2 v1, v[8:9], s[8:9]
	;; [unrolled: 1-line block ×4, first 2 shown]
.LBB6_3:                                ;   in Loop: Header=BB6_4 Depth=1
	s_or_b64 exec, exec, s[2:3]
	v_ashrrev_i32_e32 v1, 31, v0
	v_cmp_le_u64_e32 vcc, s[12:13], v[0:1]
	v_mov_b64_e32 v[2:3], v[0:1]
	s_or_b64 s[0:1], vcc, s[0:1]
	v_add_u32_e32 v0, s24, v0
	s_andn2_b64 exec, exec, s[0:1]
	s_cbranch_execz .LBB6_7
.LBB6_4:                                ; =>This Inner Loop Header: Depth=1
	v_lshl_add_u64 v[4:5], v[2:3], 3, s[16:17]
	global_load_dwordx2 v[2:3], v[4:5], off
	s_waitcnt vmcnt(0)
	v_cmp_ne_u64_e32 vcc, s[14:15], v[2:3]
	s_and_saveexec_b64 s[2:3], vcc
	s_cbranch_execz .LBB6_3
; %bb.5:                                ;   in Loop: Header=BB6_4 Depth=1
	s_mov_b64 s[22:23], exec
	v_mbcnt_lo_u32_b32 v1, s22, 0
	v_mbcnt_hi_u32_b32 v1, s23, v1
	v_cmp_eq_u32_e32 vcc, 0, v1
                                        ; implicit-def: $vgpr7
	s_and_saveexec_b64 s[20:21], vcc
	s_cbranch_execz .LBB6_2
; %bb.6:                                ;   in Loop: Header=BB6_4 Depth=1
	s_bcnt1_i32_b64 s22, s[22:23]
	v_mov_b32_e32 v7, s22
	global_atomic_add v7, v6, v7, s[4:5] sc0
	s_branch .LBB6_2
.LBB6_7:
	s_endpgm
	.section	.rodata,"a",@progbits
	.p2align	6, 0x0
	.amdhsa_kernel _Z11kernel_readPKcmmPjPmS2_S2_S2_
		.amdhsa_group_segment_fixed_size 0
		.amdhsa_private_segment_fixed_size 0
		.amdhsa_kernarg_size 320
		.amdhsa_user_sgpr_count 2
		.amdhsa_user_sgpr_dispatch_ptr 0
		.amdhsa_user_sgpr_queue_ptr 0
		.amdhsa_user_sgpr_kernarg_segment_ptr 1
		.amdhsa_user_sgpr_dispatch_id 0
		.amdhsa_user_sgpr_kernarg_preload_length 0
		.amdhsa_user_sgpr_kernarg_preload_offset 0
		.amdhsa_user_sgpr_private_segment_size 0
		.amdhsa_uses_dynamic_stack 0
		.amdhsa_enable_private_segment 0
		.amdhsa_system_sgpr_workgroup_id_x 1
		.amdhsa_system_sgpr_workgroup_id_y 0
		.amdhsa_system_sgpr_workgroup_id_z 0
		.amdhsa_system_sgpr_workgroup_info 0
		.amdhsa_system_vgpr_workitem_id 0
		.amdhsa_next_free_vgpr 10
		.amdhsa_next_free_sgpr 26
		.amdhsa_accum_offset 12
		.amdhsa_reserve_vcc 1
		.amdhsa_float_round_mode_32 0
		.amdhsa_float_round_mode_16_64 0
		.amdhsa_float_denorm_mode_32 3
		.amdhsa_float_denorm_mode_16_64 3
		.amdhsa_dx10_clamp 1
		.amdhsa_ieee_mode 1
		.amdhsa_fp16_overflow 0
		.amdhsa_tg_split 0
		.amdhsa_exception_fp_ieee_invalid_op 0
		.amdhsa_exception_fp_denorm_src 0
		.amdhsa_exception_fp_ieee_div_zero 0
		.amdhsa_exception_fp_ieee_overflow 0
		.amdhsa_exception_fp_ieee_underflow 0
		.amdhsa_exception_fp_ieee_inexact 0
		.amdhsa_exception_int_div_zero 0
	.end_amdhsa_kernel
	.text
.Lfunc_end6:
	.size	_Z11kernel_readPKcmmPjPmS2_S2_S2_, .Lfunc_end6-_Z11kernel_readPKcmmPjPmS2_S2_S2_
                                        ; -- End function
	.set _Z11kernel_readPKcmmPjPmS2_S2_S2_.num_vgpr, 10
	.set _Z11kernel_readPKcmmPjPmS2_S2_S2_.num_agpr, 0
	.set _Z11kernel_readPKcmmPjPmS2_S2_S2_.numbered_sgpr, 26
	.set _Z11kernel_readPKcmmPjPmS2_S2_S2_.num_named_barrier, 0
	.set _Z11kernel_readPKcmmPjPmS2_S2_S2_.private_seg_size, 0
	.set _Z11kernel_readPKcmmPjPmS2_S2_S2_.uses_vcc, 1
	.set _Z11kernel_readPKcmmPjPmS2_S2_S2_.uses_flat_scratch, 0
	.set _Z11kernel_readPKcmmPjPmS2_S2_S2_.has_dyn_sized_stack, 0
	.set _Z11kernel_readPKcmmPjPmS2_S2_S2_.has_recursion, 0
	.set _Z11kernel_readPKcmmPjPmS2_S2_S2_.has_indirect_call, 0
	.section	.AMDGPU.csdata,"",@progbits
; Kernel info:
; codeLenInByte = 340
; TotalNumSgprs: 32
; NumVgprs: 10
; NumAgprs: 0
; TotalNumVgprs: 10
; ScratchSize: 0
; MemoryBound: 0
; FloatMode: 240
; IeeeMode: 1
; LDSByteSize: 0 bytes/workgroup (compile time only)
; SGPRBlocks: 3
; VGPRBlocks: 1
; NumSGPRsForWavesPerEU: 32
; NumVGPRsForWavesPerEU: 10
; AccumOffset: 12
; Occupancy: 8
; WaveLimiterHint : 0
; COMPUTE_PGM_RSRC2:SCRATCH_EN: 0
; COMPUTE_PGM_RSRC2:USER_SGPR: 2
; COMPUTE_PGM_RSRC2:TRAP_HANDLER: 0
; COMPUTE_PGM_RSRC2:TGID_X_EN: 1
; COMPUTE_PGM_RSRC2:TGID_Y_EN: 0
; COMPUTE_PGM_RSRC2:TGID_Z_EN: 0
; COMPUTE_PGM_RSRC2:TIDIG_COMP_CNT: 0
; COMPUTE_PGM_RSRC3_GFX90A:ACCUM_OFFSET: 2
; COMPUTE_PGM_RSRC3_GFX90A:TG_SPLIT: 0
	.text
	.protected	_Z12kernel5_initPcm     ; -- Begin function _Z12kernel5_initPcm
	.globl	_Z12kernel5_initPcm
	.p2align	8
	.type	_Z12kernel5_initPcm,@function
_Z12kernel5_initPcm:                    ; @_Z12kernel5_initPcm
; %bb.0:
	s_load_dword s3, s[0:1], 0x1c
	s_load_dwordx4 s[4:7], s[0:1], 0x0
	s_add_u32 s8, s0, 16
	s_addc_u32 s9, s1, 0
	s_waitcnt lgkmcnt(0)
	s_and_b32 s3, s3, 0xffff
	s_mul_i32 s0, s2, s3
	v_add_u32_e32 v6, s0, v0
	s_lshr_b64 s[0:1], s[6:7], 6
	v_ashrrev_i32_e32 v7, 31, v6
	v_cmp_gt_u64_e32 vcc, s[0:1], v[6:7]
	s_and_saveexec_b64 s[6:7], vcc
	s_cbranch_execz .LBB7_3
; %bb.1:
	s_load_dword s7, s[8:9], 0x0
	v_lshlrev_b32_e64 v2, v6, 1
	v_not_b32_e32 v4, v2
	v_mov_b32_e32 v3, v2
	v_mov_b32_e32 v5, v4
	s_waitcnt lgkmcnt(0)
	s_add_i32 s2, s2, s7
	s_mul_i32 s6, s7, s3
	s_mul_i32 s2, s2, s3
	v_add_u32_e32 v0, s2, v0
	s_ashr_i32 s7, s6, 31
	v_ashrrev_i32_e32 v1, 31, v0
	v_mov_b32_e32 v7, s7
	v_subrev_co_u32_e32 v0, vcc, s6, v0
	v_lshlrev_b32_e32 v6, 4, v6
	s_nop 0
	v_subb_co_u32_e32 v1, vcc, v1, v7, vcc
	s_lshl_b32 s8, s6, 4
	s_mov_b64 s[2:3], 0
.LBB7_2:                                ; =>This Inner Loop Header: Depth=1
	v_lshl_add_u64 v[0:1], v[0:1], 0, s[6:7]
	v_ashrrev_i32_e32 v7, 31, v6
	v_cmp_le_u64_e32 vcc, s[0:1], v[0:1]
	v_lshl_add_u64 v[8:9], v[6:7], 2, s[4:5]
	s_or_b64 s[2:3], vcc, s[2:3]
	v_add_u32_e32 v6, s8, v6
	global_store_dwordx4 v[8:9], v[2:5], off
	global_store_dwordx4 v[8:9], v[2:5], off offset:16
	global_store_dwordx4 v[8:9], v[2:5], off offset:32
	;; [unrolled: 1-line block ×3, first 2 shown]
	s_andn2_b64 exec, exec, s[2:3]
	s_cbranch_execnz .LBB7_2
.LBB7_3:
	s_endpgm
	.section	.rodata,"a",@progbits
	.p2align	6, 0x0
	.amdhsa_kernel _Z12kernel5_initPcm
		.amdhsa_group_segment_fixed_size 0
		.amdhsa_private_segment_fixed_size 0
		.amdhsa_kernarg_size 272
		.amdhsa_user_sgpr_count 2
		.amdhsa_user_sgpr_dispatch_ptr 0
		.amdhsa_user_sgpr_queue_ptr 0
		.amdhsa_user_sgpr_kernarg_segment_ptr 1
		.amdhsa_user_sgpr_dispatch_id 0
		.amdhsa_user_sgpr_kernarg_preload_length 0
		.amdhsa_user_sgpr_kernarg_preload_offset 0
		.amdhsa_user_sgpr_private_segment_size 0
		.amdhsa_uses_dynamic_stack 0
		.amdhsa_enable_private_segment 0
		.amdhsa_system_sgpr_workgroup_id_x 1
		.amdhsa_system_sgpr_workgroup_id_y 0
		.amdhsa_system_sgpr_workgroup_id_z 0
		.amdhsa_system_sgpr_workgroup_info 0
		.amdhsa_system_vgpr_workitem_id 0
		.amdhsa_next_free_vgpr 10
		.amdhsa_next_free_sgpr 10
		.amdhsa_accum_offset 12
		.amdhsa_reserve_vcc 1
		.amdhsa_float_round_mode_32 0
		.amdhsa_float_round_mode_16_64 0
		.amdhsa_float_denorm_mode_32 3
		.amdhsa_float_denorm_mode_16_64 3
		.amdhsa_dx10_clamp 1
		.amdhsa_ieee_mode 1
		.amdhsa_fp16_overflow 0
		.amdhsa_tg_split 0
		.amdhsa_exception_fp_ieee_invalid_op 0
		.amdhsa_exception_fp_denorm_src 0
		.amdhsa_exception_fp_ieee_div_zero 0
		.amdhsa_exception_fp_ieee_overflow 0
		.amdhsa_exception_fp_ieee_underflow 0
		.amdhsa_exception_fp_ieee_inexact 0
		.amdhsa_exception_int_div_zero 0
	.end_amdhsa_kernel
	.text
.Lfunc_end7:
	.size	_Z12kernel5_initPcm, .Lfunc_end7-_Z12kernel5_initPcm
                                        ; -- End function
	.set _Z12kernel5_initPcm.num_vgpr, 10
	.set _Z12kernel5_initPcm.num_agpr, 0
	.set _Z12kernel5_initPcm.numbered_sgpr, 10
	.set _Z12kernel5_initPcm.num_named_barrier, 0
	.set _Z12kernel5_initPcm.private_seg_size, 0
	.set _Z12kernel5_initPcm.uses_vcc, 1
	.set _Z12kernel5_initPcm.uses_flat_scratch, 0
	.set _Z12kernel5_initPcm.has_dyn_sized_stack, 0
	.set _Z12kernel5_initPcm.has_recursion, 0
	.set _Z12kernel5_initPcm.has_indirect_call, 0
	.section	.AMDGPU.csdata,"",@progbits
; Kernel info:
; codeLenInByte = 224
; TotalNumSgprs: 16
; NumVgprs: 10
; NumAgprs: 0
; TotalNumVgprs: 10
; ScratchSize: 0
; MemoryBound: 0
; FloatMode: 240
; IeeeMode: 1
; LDSByteSize: 0 bytes/workgroup (compile time only)
; SGPRBlocks: 1
; VGPRBlocks: 1
; NumSGPRsForWavesPerEU: 16
; NumVGPRsForWavesPerEU: 10
; AccumOffset: 12
; Occupancy: 8
; WaveLimiterHint : 0
; COMPUTE_PGM_RSRC2:SCRATCH_EN: 0
; COMPUTE_PGM_RSRC2:USER_SGPR: 2
; COMPUTE_PGM_RSRC2:TRAP_HANDLER: 0
; COMPUTE_PGM_RSRC2:TGID_X_EN: 1
; COMPUTE_PGM_RSRC2:TGID_Y_EN: 0
; COMPUTE_PGM_RSRC2:TGID_Z_EN: 0
; COMPUTE_PGM_RSRC2:TIDIG_COMP_CNT: 0
; COMPUTE_PGM_RSRC3_GFX90A:ACCUM_OFFSET: 2
; COMPUTE_PGM_RSRC3_GFX90A:TG_SPLIT: 0
	.text
	.protected	_Z12kernel5_movePcm     ; -- Begin function _Z12kernel5_movePcm
	.globl	_Z12kernel5_movePcm
	.p2align	8
	.type	_Z12kernel5_movePcm,@function
_Z12kernel5_movePcm:                    ; @_Z12kernel5_movePcm
; %bb.0:
	s_load_dword s3, s[0:1], 0x1c
	s_load_dwordx4 s[4:7], s[0:1], 0x0
	s_add_u32 s8, s0, 16
	s_addc_u32 s9, s1, 0
	s_waitcnt lgkmcnt(0)
	s_and_b32 s10, s3, 0xffff
	s_mul_i32 s2, s2, s10
	v_add_u32_e32 v0, s2, v0
	s_lshr_b64 s[0:1], s[6:7], 20
	v_ashrrev_i32_e32 v1, 31, v0
	v_cmp_gt_u64_e32 vcc, s[0:1], v[0:1]
	s_and_saveexec_b64 s[2:3], vcc
	s_cbranch_execz .LBB8_7
; %bb.1:
	s_load_dword s14, s[8:9], 0x0
	v_lshlrev_b32_e32 v2, 20, v0
	s_mov_b64 s[2:3], 0
	s_mov_b64 s[6:7], 0x80000
	;; [unrolled: 1-line block ×3, first 2 shown]
	s_waitcnt lgkmcnt(0)
	s_mul_i32 s14, s14, s10
	s_lshl_b32 s15, s14, 20
	s_mov_b64 s[10:11], 0xfffe0
.LBB8_2:                                ; =>This Loop Header: Depth=1
                                        ;     Child Loop BB8_3 Depth 2
                                        ;     Child Loop BB8_5 Depth 2
	v_ashrrev_i32_e32 v3, 31, v2
	v_lshl_add_u64 v[4:5], s[4:5], 0, v[2:3]
	s_mov_b64 s[12:13], 0
.LBB8_3:                                ;   Parent Loop BB8_2 Depth=1
                                        ; =>  This Inner Loop Header: Depth=2
	v_lshl_add_u64 v[38:39], v[4:5], 0, s[12:13]
	global_load_dwordx4 v[6:9], v[38:39], off
	global_load_dwordx4 v[10:13], v[38:39], off offset:16
	global_load_dwordx4 v[14:17], v[38:39], off offset:32
	;; [unrolled: 1-line block ×7, first 2 shown]
	s_add_u32 s12, s12, 0x80
	v_add_co_u32_e32 v38, vcc, 0x80000, v38
	s_addc_u32 s13, s13, 0
	s_nop 0
	v_addc_co_u32_e32 v39, vcc, 0, v39, vcc
	s_cmp_lg_u32 s12, 0x80000
	s_waitcnt vmcnt(7)
	global_store_dwordx4 v[38:39], v[6:9], off
	s_waitcnt vmcnt(7)
	global_store_dwordx4 v[38:39], v[10:13], off offset:16
	s_waitcnt vmcnt(7)
	global_store_dwordx4 v[38:39], v[14:17], off offset:32
	;; [unrolled: 2-line block ×7, first 2 shown]
	s_cbranch_scc1 .LBB8_3
; %bb.4:                                ;   in Loop: Header=BB8_2 Depth=1
	s_mov_b64 s[12:13], 0
.LBB8_5:                                ;   Parent Loop BB8_2 Depth=1
                                        ; =>  This Inner Loop Header: Depth=2
	v_lshl_add_u64 v[30:31], v[4:5], 0, s[12:13]
	v_add_co_u32_e32 v34, vcc, 0x80000, v30
	v_lshl_add_u64 v[32:33], v[30:31], 0, s[6:7]
	s_nop 0
	v_addc_co_u32_e32 v35, vcc, 0, v31, vcc
	v_lshl_add_u64 v[36:37], v[30:31], 0, s[8:9]
	global_load_dwordx4 v[6:9], v[32:33], off offset:32
	global_load_dwordx4 v[10:13], v[32:33], off offset:16
	global_load_dwordx4 v[14:17], v[34:35], off
	global_load_dwordx4 v[18:21], v[32:33], off offset:48
	global_load_dwordx4 v[22:25], v[34:35], off offset:64
	;; [unrolled: 1-line block ×3, first 2 shown]
	s_add_u32 s12, s12, 0x60
	s_addc_u32 s13, s13, 0
	s_cmp_lg_u32 s12, 0x7ffe0
	s_waitcnt vmcnt(4)
	global_store_dwordx4 v[30:31], v[10:13], off offset:48
	global_store_dwordx4 v[30:31], v[6:9], off offset:64
	s_waitcnt vmcnt(5)
	global_store_dwordx4 v[30:31], v[14:17], off offset:32
	s_waitcnt vmcnt(5)
	;; [unrolled: 2-line block ×4, first 2 shown]
	global_store_dwordx4 v[30:31], v[26:29], off offset:112
	s_cbranch_scc1 .LBB8_5
; %bb.6:                                ;   in Loop: Header=BB8_2 Depth=1
	v_lshlrev_b32_e32 v4, 20, v0
	v_ashrrev_i32_e32 v5, 31, v4
	v_lshl_add_u64 v[12:13], s[4:5], 0, v[4:5]
	v_add_co_u32_e32 v16, vcc, 0xff000, v12
	v_lshl_add_u64 v[14:15], v[12:13], 0, s[10:11]
	s_nop 0
	v_addc_co_u32_e32 v17, vcc, 0, v13, vcc
	global_load_dwordx4 v[4:7], v[16:17], off offset:4064
	global_load_dwordx4 v[8:11], v[14:15], off offset:16
	v_add_u32_e32 v0, s14, v0
	v_ashrrev_i32_e32 v1, 31, v0
	v_cmp_le_u64_e32 vcc, s[0:1], v[0:1]
	s_or_b64 s[2:3], vcc, s[2:3]
	v_add_u32_e32 v2, s15, v2
	s_waitcnt vmcnt(1)
	global_store_dwordx4 v[12:13], v[4:7], off
	s_waitcnt vmcnt(1)
	global_store_dwordx4 v[12:13], v[8:11], off offset:16
	s_andn2_b64 exec, exec, s[2:3]
	s_cbranch_execnz .LBB8_2
.LBB8_7:
	s_endpgm
	.section	.rodata,"a",@progbits
	.p2align	6, 0x0
	.amdhsa_kernel _Z12kernel5_movePcm
		.amdhsa_group_segment_fixed_size 0
		.amdhsa_private_segment_fixed_size 0
		.amdhsa_kernarg_size 272
		.amdhsa_user_sgpr_count 2
		.amdhsa_user_sgpr_dispatch_ptr 0
		.amdhsa_user_sgpr_queue_ptr 0
		.amdhsa_user_sgpr_kernarg_segment_ptr 1
		.amdhsa_user_sgpr_dispatch_id 0
		.amdhsa_user_sgpr_kernarg_preload_length 0
		.amdhsa_user_sgpr_kernarg_preload_offset 0
		.amdhsa_user_sgpr_private_segment_size 0
		.amdhsa_uses_dynamic_stack 0
		.amdhsa_enable_private_segment 0
		.amdhsa_system_sgpr_workgroup_id_x 1
		.amdhsa_system_sgpr_workgroup_id_y 0
		.amdhsa_system_sgpr_workgroup_id_z 0
		.amdhsa_system_sgpr_workgroup_info 0
		.amdhsa_system_vgpr_workitem_id 0
		.amdhsa_next_free_vgpr 40
		.amdhsa_next_free_sgpr 16
		.amdhsa_accum_offset 40
		.amdhsa_reserve_vcc 1
		.amdhsa_float_round_mode_32 0
		.amdhsa_float_round_mode_16_64 0
		.amdhsa_float_denorm_mode_32 3
		.amdhsa_float_denorm_mode_16_64 3
		.amdhsa_dx10_clamp 1
		.amdhsa_ieee_mode 1
		.amdhsa_fp16_overflow 0
		.amdhsa_tg_split 0
		.amdhsa_exception_fp_ieee_invalid_op 0
		.amdhsa_exception_fp_denorm_src 0
		.amdhsa_exception_fp_ieee_div_zero 0
		.amdhsa_exception_fp_ieee_overflow 0
		.amdhsa_exception_fp_ieee_underflow 0
		.amdhsa_exception_fp_ieee_inexact 0
		.amdhsa_exception_int_div_zero 0
	.end_amdhsa_kernel
	.text
.Lfunc_end8:
	.size	_Z12kernel5_movePcm, .Lfunc_end8-_Z12kernel5_movePcm
                                        ; -- End function
	.set _Z12kernel5_movePcm.num_vgpr, 40
	.set _Z12kernel5_movePcm.num_agpr, 0
	.set _Z12kernel5_movePcm.numbered_sgpr, 16
	.set _Z12kernel5_movePcm.num_named_barrier, 0
	.set _Z12kernel5_movePcm.private_seg_size, 0
	.set _Z12kernel5_movePcm.uses_vcc, 1
	.set _Z12kernel5_movePcm.uses_flat_scratch, 0
	.set _Z12kernel5_movePcm.has_dyn_sized_stack, 0
	.set _Z12kernel5_movePcm.has_recursion, 0
	.set _Z12kernel5_movePcm.has_indirect_call, 0
	.section	.AMDGPU.csdata,"",@progbits
; Kernel info:
; codeLenInByte = 636
; TotalNumSgprs: 22
; NumVgprs: 40
; NumAgprs: 0
; TotalNumVgprs: 40
; ScratchSize: 0
; MemoryBound: 0
; FloatMode: 240
; IeeeMode: 1
; LDSByteSize: 0 bytes/workgroup (compile time only)
; SGPRBlocks: 2
; VGPRBlocks: 4
; NumSGPRsForWavesPerEU: 22
; NumVGPRsForWavesPerEU: 40
; AccumOffset: 40
; Occupancy: 8
; WaveLimiterHint : 1
; COMPUTE_PGM_RSRC2:SCRATCH_EN: 0
; COMPUTE_PGM_RSRC2:USER_SGPR: 2
; COMPUTE_PGM_RSRC2:TRAP_HANDLER: 0
; COMPUTE_PGM_RSRC2:TGID_X_EN: 1
; COMPUTE_PGM_RSRC2:TGID_Y_EN: 0
; COMPUTE_PGM_RSRC2:TGID_Z_EN: 0
; COMPUTE_PGM_RSRC2:TIDIG_COMP_CNT: 0
; COMPUTE_PGM_RSRC3_GFX90A:ACCUM_OFFSET: 9
; COMPUTE_PGM_RSRC3_GFX90A:TG_SPLIT: 0
	.text
	.protected	_Z13kernel5_checkPKcmPjPmS2_S2_S2_ ; -- Begin function _Z13kernel5_checkPKcmPjPmS2_S2_S2_
	.globl	_Z13kernel5_checkPKcmPjPmS2_S2_S2_
	.p2align	8
	.type	_Z13kernel5_checkPKcmPjPmS2_S2_S2_,@function
_Z13kernel5_checkPKcmPjPmS2_S2_S2_:     ; @_Z13kernel5_checkPKcmPjPmS2_S2_S2_
; %bb.0:
	s_load_dword s3, s[0:1], 0x44
	s_load_dwordx2 s[4:5], s[0:1], 0x8
	s_add_u32 s18, s0, 56
	s_addc_u32 s19, s1, 0
	s_waitcnt lgkmcnt(0)
	s_and_b32 s3, s3, 0xffff
	s_mul_i32 s6, s2, s3
	v_add_u32_e32 v2, s6, v0
	s_lshr_b64 s[12:13], s[4:5], 3
	v_ashrrev_i32_e32 v3, 31, v2
	v_cmp_gt_u64_e32 vcc, s[12:13], v[2:3]
	s_and_saveexec_b64 s[4:5], vcc
	s_cbranch_execz .LBB9_7
; %bb.1:
	s_load_dword s20, s[18:19], 0x0
	s_load_dwordx2 s[14:15], s[0:1], 0x0
	s_load_dwordx8 s[4:11], s[0:1], 0x10
	s_load_dwordx2 s[16:17], s[0:1], 0x30
	v_lshlrev_b32_e32 v2, 1, v2
	s_waitcnt lgkmcnt(0)
	s_add_i32 s0, s2, s20
	s_mul_i32 s22, s20, s3
	s_mul_i32 s0, s0, s3
	v_add_u32_e32 v0, s0, v0
	s_lshl_b32 s23, s22, 1
	s_mov_b64 s[0:1], 0
	v_mov_b32_e32 v5, 0
	s_mov_b32 s24, 0xcccccccd
	s_branch .LBB9_4
.LBB9_2:                                ;   in Loop: Header=BB9_4 Depth=1
	s_or_b64 exec, exec, s[18:19]
	s_waitcnt vmcnt(0)
	v_readfirstlane_b32 s18, v3
	v_mov_b32_e32 v4, v7
	v_mov_b32_e32 v7, v5
	v_add_u32_e32 v1, s18, v1
	v_mul_hi_u32 v3, v1, s24
	v_lshrrev_b32_e32 v3, 3, v3
	v_mul_lo_u32 v3, v3, 10
	v_sub_u32_e32 v1, v1, v3
	v_lshlrev_b32_e32 v1, 3, v1
	global_store_dwordx2 v1, v[8:9], s[6:7]
	global_store_dwordx2 v1, v[4:5], s[8:9]
	;; [unrolled: 1-line block ×4, first 2 shown]
.LBB9_3:                                ;   in Loop: Header=BB9_4 Depth=1
	s_or_b64 exec, exec, s[2:3]
	v_ashrrev_i32_e32 v1, 31, v0
	v_cmp_le_u64_e32 vcc, s[12:13], v[0:1]
	v_add_u32_e32 v0, s22, v0
	s_or_b64 s[0:1], vcc, s[0:1]
	v_add_u32_e32 v2, s23, v2
	s_andn2_b64 exec, exec, s[0:1]
	s_cbranch_execz .LBB9_7
.LBB9_4:                                ; =>This Inner Loop Header: Depth=1
	v_ashrrev_i32_e32 v3, 31, v2
	v_lshl_add_u64 v[8:9], v[2:3], 2, s[14:15]
	global_load_dwordx2 v[6:7], v[8:9], off
	s_waitcnt vmcnt(0)
	v_cmp_ne_u32_e32 vcc, v6, v7
	s_and_saveexec_b64 s[2:3], vcc
	s_cbranch_execz .LBB9_3
; %bb.5:                                ;   in Loop: Header=BB9_4 Depth=1
	s_mov_b64 s[20:21], exec
	v_mbcnt_lo_u32_b32 v1, s20, 0
	v_mbcnt_hi_u32_b32 v1, s21, v1
	v_cmp_eq_u32_e32 vcc, 0, v1
                                        ; implicit-def: $vgpr3
	s_and_saveexec_b64 s[18:19], vcc
	s_cbranch_execz .LBB9_2
; %bb.6:                                ;   in Loop: Header=BB9_4 Depth=1
	s_bcnt1_i32_b64 s20, s[20:21]
	v_mov_b32_e32 v3, s20
	global_atomic_add v3, v5, v3, s[4:5] sc0
	s_branch .LBB9_2
.LBB9_7:
	s_endpgm
	.section	.rodata,"a",@progbits
	.p2align	6, 0x0
	.amdhsa_kernel _Z13kernel5_checkPKcmPjPmS2_S2_S2_
		.amdhsa_group_segment_fixed_size 0
		.amdhsa_private_segment_fixed_size 0
		.amdhsa_kernarg_size 312
		.amdhsa_user_sgpr_count 2
		.amdhsa_user_sgpr_dispatch_ptr 0
		.amdhsa_user_sgpr_queue_ptr 0
		.amdhsa_user_sgpr_kernarg_segment_ptr 1
		.amdhsa_user_sgpr_dispatch_id 0
		.amdhsa_user_sgpr_kernarg_preload_length 0
		.amdhsa_user_sgpr_kernarg_preload_offset 0
		.amdhsa_user_sgpr_private_segment_size 0
		.amdhsa_uses_dynamic_stack 0
		.amdhsa_enable_private_segment 0
		.amdhsa_system_sgpr_workgroup_id_x 1
		.amdhsa_system_sgpr_workgroup_id_y 0
		.amdhsa_system_sgpr_workgroup_id_z 0
		.amdhsa_system_sgpr_workgroup_info 0
		.amdhsa_system_vgpr_workitem_id 0
		.amdhsa_next_free_vgpr 10
		.amdhsa_next_free_sgpr 25
		.amdhsa_accum_offset 12
		.amdhsa_reserve_vcc 1
		.amdhsa_float_round_mode_32 0
		.amdhsa_float_round_mode_16_64 0
		.amdhsa_float_denorm_mode_32 3
		.amdhsa_float_denorm_mode_16_64 3
		.amdhsa_dx10_clamp 1
		.amdhsa_ieee_mode 1
		.amdhsa_fp16_overflow 0
		.amdhsa_tg_split 0
		.amdhsa_exception_fp_ieee_invalid_op 0
		.amdhsa_exception_fp_denorm_src 0
		.amdhsa_exception_fp_ieee_div_zero 0
		.amdhsa_exception_fp_ieee_overflow 0
		.amdhsa_exception_fp_ieee_underflow 0
		.amdhsa_exception_fp_ieee_inexact 0
		.amdhsa_exception_int_div_zero 0
	.end_amdhsa_kernel
	.text
.Lfunc_end9:
	.size	_Z13kernel5_checkPKcmPjPmS2_S2_S2_, .Lfunc_end9-_Z13kernel5_checkPKcmPjPmS2_S2_S2_
                                        ; -- End function
	.set _Z13kernel5_checkPKcmPjPmS2_S2_S2_.num_vgpr, 10
	.set _Z13kernel5_checkPKcmPjPmS2_S2_S2_.num_agpr, 0
	.set _Z13kernel5_checkPKcmPjPmS2_S2_S2_.numbered_sgpr, 25
	.set _Z13kernel5_checkPKcmPjPmS2_S2_S2_.num_named_barrier, 0
	.set _Z13kernel5_checkPKcmPjPmS2_S2_S2_.private_seg_size, 0
	.set _Z13kernel5_checkPKcmPjPmS2_S2_S2_.uses_vcc, 1
	.set _Z13kernel5_checkPKcmPjPmS2_S2_S2_.uses_flat_scratch, 0
	.set _Z13kernel5_checkPKcmPjPmS2_S2_S2_.has_dyn_sized_stack, 0
	.set _Z13kernel5_checkPKcmPjPmS2_S2_S2_.has_recursion, 0
	.set _Z13kernel5_checkPKcmPjPmS2_S2_S2_.has_indirect_call, 0
	.section	.AMDGPU.csdata,"",@progbits
; Kernel info:
; codeLenInByte = 352
; TotalNumSgprs: 31
; NumVgprs: 10
; NumAgprs: 0
; TotalNumVgprs: 10
; ScratchSize: 0
; MemoryBound: 0
; FloatMode: 240
; IeeeMode: 1
; LDSByteSize: 0 bytes/workgroup (compile time only)
; SGPRBlocks: 3
; VGPRBlocks: 1
; NumSGPRsForWavesPerEU: 31
; NumVGPRsForWavesPerEU: 10
; AccumOffset: 12
; Occupancy: 8
; WaveLimiterHint : 0
; COMPUTE_PGM_RSRC2:SCRATCH_EN: 0
; COMPUTE_PGM_RSRC2:USER_SGPR: 2
; COMPUTE_PGM_RSRC2:TRAP_HANDLER: 0
; COMPUTE_PGM_RSRC2:TGID_X_EN: 1
; COMPUTE_PGM_RSRC2:TGID_Y_EN: 0
; COMPUTE_PGM_RSRC2:TGID_Z_EN: 0
; COMPUTE_PGM_RSRC2:TIDIG_COMP_CNT: 0
; COMPUTE_PGM_RSRC3_GFX90A:ACCUM_OFFSET: 2
; COMPUTE_PGM_RSRC3_GFX90A:TG_SPLIT: 0
	.text
	.p2alignl 6, 3212836864
	.fill 256, 4, 3212836864
	.section	.AMDGPU.gpr_maximums,"",@progbits
	.set amdgpu.max_num_vgpr, 0
	.set amdgpu.max_num_agpr, 0
	.set amdgpu.max_num_sgpr, 0
	.text
	.type	__hip_cuid_fc19526f6adca408,@object ; @__hip_cuid_fc19526f6adca408
	.section	.bss,"aw",@nobits
	.globl	__hip_cuid_fc19526f6adca408
__hip_cuid_fc19526f6adca408:
	.byte	0                               ; 0x0
	.size	__hip_cuid_fc19526f6adca408, 1

	.ident	"AMD clang version 22.0.0git (https://github.com/RadeonOpenCompute/llvm-project roc-7.2.4 26084 f58b06dce1f9c15707c5f808fd002e18c2accf7e)"
	.section	".note.GNU-stack","",@progbits
	.addrsig
	.addrsig_sym __hip_cuid_fc19526f6adca408
	.amdgpu_metadata
---
amdhsa.kernels:
  - .agpr_count:     0
    .args:
      - .address_space:  global
        .offset:         0
        .size:           8
        .value_kind:     global_buffer
      - .offset:         8
        .size:           8
        .value_kind:     by_value
      - .offset:         16
        .size:           4
        .value_kind:     hidden_block_count_x
      - .offset:         20
        .size:           4
        .value_kind:     hidden_block_count_y
      - .offset:         24
        .size:           4
        .value_kind:     hidden_block_count_z
      - .offset:         28
        .size:           2
        .value_kind:     hidden_group_size_x
      - .offset:         30
        .size:           2
        .value_kind:     hidden_group_size_y
      - .offset:         32
        .size:           2
        .value_kind:     hidden_group_size_z
      - .offset:         34
        .size:           2
        .value_kind:     hidden_remainder_x
      - .offset:         36
        .size:           2
        .value_kind:     hidden_remainder_y
      - .offset:         38
        .size:           2
        .value_kind:     hidden_remainder_z
      - .offset:         56
        .size:           8
        .value_kind:     hidden_global_offset_x
      - .offset:         64
        .size:           8
        .value_kind:     hidden_global_offset_y
      - .offset:         72
        .size:           8
        .value_kind:     hidden_global_offset_z
      - .offset:         80
        .size:           2
        .value_kind:     hidden_grid_dims
    .group_segment_fixed_size: 0
    .kernarg_segment_align: 8
    .kernarg_segment_size: 272
    .language:       OpenCL C
    .language_version:
      - 2
      - 0
    .max_flat_workgroup_size: 1024
    .name:           _Z13kernel0_writePcm
    .private_segment_fixed_size: 0
    .sgpr_count:     44
    .sgpr_spill_count: 0
    .symbol:         _Z13kernel0_writePcm.kd
    .uniform_work_group_size: 1
    .uses_dynamic_stack: false
    .vgpr_count:     13
    .vgpr_spill_count: 0
    .wavefront_size: 64
  - .agpr_count:     0
    .args:
      - .address_space:  global
        .offset:         0
        .size:           8
        .value_kind:     global_buffer
      - .offset:         8
        .size:           8
        .value_kind:     by_value
      - .address_space:  global
        .offset:         16
        .size:           8
        .value_kind:     global_buffer
      - .actual_access:  write_only
        .address_space:  global
        .offset:         24
        .size:           8
        .value_kind:     global_buffer
      - .actual_access:  write_only
        .address_space:  global
        .offset:         32
        .size:           8
        .value_kind:     global_buffer
      - .actual_access:  write_only
        .address_space:  global
        .offset:         40
        .size:           8
        .value_kind:     global_buffer
      - .actual_access:  write_only
        .address_space:  global
        .offset:         48
        .size:           8
        .value_kind:     global_buffer
      - .offset:         56
        .size:           4
        .value_kind:     hidden_block_count_x
      - .offset:         60
        .size:           4
        .value_kind:     hidden_block_count_y
      - .offset:         64
        .size:           4
        .value_kind:     hidden_block_count_z
      - .offset:         68
        .size:           2
        .value_kind:     hidden_group_size_x
      - .offset:         70
        .size:           2
        .value_kind:     hidden_group_size_y
      - .offset:         72
        .size:           2
        .value_kind:     hidden_group_size_z
      - .offset:         74
        .size:           2
        .value_kind:     hidden_remainder_x
      - .offset:         76
        .size:           2
        .value_kind:     hidden_remainder_y
      - .offset:         78
        .size:           2
        .value_kind:     hidden_remainder_z
      - .offset:         96
        .size:           8
        .value_kind:     hidden_global_offset_x
      - .offset:         104
        .size:           8
        .value_kind:     hidden_global_offset_y
      - .offset:         112
        .size:           8
        .value_kind:     hidden_global_offset_z
      - .offset:         120
        .size:           2
        .value_kind:     hidden_grid_dims
    .group_segment_fixed_size: 0
    .kernarg_segment_align: 8
    .kernarg_segment_size: 312
    .language:       OpenCL C
    .language_version:
      - 2
      - 0
    .max_flat_workgroup_size: 1024
    .name:           _Z12kernel0_readPKcmPjPmS2_S2_S2_
    .private_segment_fixed_size: 0
    .sgpr_count:     55
    .sgpr_spill_count: 0
    .symbol:         _Z12kernel0_readPKcmPjPmS2_S2_S2_.kd
    .uniform_work_group_size: 1
    .uses_dynamic_stack: false
    .vgpr_count:     16
    .vgpr_spill_count: 0
    .wavefront_size: 64
  - .agpr_count:     0
    .args:
      - .address_space:  global
        .offset:         0
        .size:           8
        .value_kind:     global_buffer
      - .offset:         8
        .size:           8
        .value_kind:     by_value
      - .offset:         16
        .size:           4
        .value_kind:     hidden_block_count_x
      - .offset:         20
        .size:           4
        .value_kind:     hidden_block_count_y
      - .offset:         24
        .size:           4
        .value_kind:     hidden_block_count_z
      - .offset:         28
        .size:           2
        .value_kind:     hidden_group_size_x
      - .offset:         30
        .size:           2
        .value_kind:     hidden_group_size_y
      - .offset:         32
        .size:           2
        .value_kind:     hidden_group_size_z
      - .offset:         34
        .size:           2
        .value_kind:     hidden_remainder_x
      - .offset:         36
        .size:           2
        .value_kind:     hidden_remainder_y
      - .offset:         38
        .size:           2
        .value_kind:     hidden_remainder_z
      - .offset:         56
        .size:           8
        .value_kind:     hidden_global_offset_x
      - .offset:         64
        .size:           8
        .value_kind:     hidden_global_offset_y
      - .offset:         72
        .size:           8
        .value_kind:     hidden_global_offset_z
      - .offset:         80
        .size:           2
        .value_kind:     hidden_grid_dims
    .group_segment_fixed_size: 0
    .kernarg_segment_align: 8
    .kernarg_segment_size: 272
    .language:       OpenCL C
    .language_version:
      - 2
      - 0
    .max_flat_workgroup_size: 1024
    .name:           _Z13kernel1_writePcm
    .private_segment_fixed_size: 0
    .sgpr_count:     16
    .sgpr_spill_count: 0
    .symbol:         _Z13kernel1_writePcm.kd
    .uniform_work_group_size: 1
    .uses_dynamic_stack: false
    .vgpr_count:     5
    .vgpr_spill_count: 0
    .wavefront_size: 64
  - .agpr_count:     0
    .args:
      - .address_space:  global
        .offset:         0
        .size:           8
        .value_kind:     global_buffer
      - .offset:         8
        .size:           8
        .value_kind:     by_value
      - .address_space:  global
        .offset:         16
        .size:           8
        .value_kind:     global_buffer
      - .actual_access:  write_only
        .address_space:  global
        .offset:         24
        .size:           8
        .value_kind:     global_buffer
      - .actual_access:  write_only
        .address_space:  global
        .offset:         32
        .size:           8
        .value_kind:     global_buffer
      - .actual_access:  write_only
        .address_space:  global
        .offset:         40
        .size:           8
        .value_kind:     global_buffer
      - .actual_access:  write_only
        .address_space:  global
        .offset:         48
        .size:           8
        .value_kind:     global_buffer
      - .offset:         56
        .size:           4
        .value_kind:     hidden_block_count_x
      - .offset:         60
        .size:           4
        .value_kind:     hidden_block_count_y
      - .offset:         64
        .size:           4
        .value_kind:     hidden_block_count_z
      - .offset:         68
        .size:           2
        .value_kind:     hidden_group_size_x
      - .offset:         70
        .size:           2
        .value_kind:     hidden_group_size_y
      - .offset:         72
        .size:           2
        .value_kind:     hidden_group_size_z
      - .offset:         74
        .size:           2
        .value_kind:     hidden_remainder_x
      - .offset:         76
        .size:           2
        .value_kind:     hidden_remainder_y
      - .offset:         78
        .size:           2
        .value_kind:     hidden_remainder_z
      - .offset:         96
        .size:           8
        .value_kind:     hidden_global_offset_x
      - .offset:         104
        .size:           8
        .value_kind:     hidden_global_offset_y
      - .offset:         112
        .size:           8
        .value_kind:     hidden_global_offset_z
      - .offset:         120
        .size:           2
        .value_kind:     hidden_grid_dims
    .group_segment_fixed_size: 0
    .kernarg_segment_align: 8
    .kernarg_segment_size: 312
    .language:       OpenCL C
    .language_version:
      - 2
      - 0
    .max_flat_workgroup_size: 1024
    .name:           _Z12kernel1_readPKcmPjPmS2_S2_S2_
    .private_segment_fixed_size: 0
    .sgpr_count:     30
    .sgpr_spill_count: 0
    .symbol:         _Z12kernel1_readPKcmPjPmS2_S2_S2_.kd
    .uniform_work_group_size: 1
    .uses_dynamic_stack: false
    .vgpr_count:     8
    .vgpr_spill_count: 0
    .wavefront_size: 64
  - .agpr_count:     0
    .args:
      - .address_space:  global
        .offset:         0
        .size:           8
        .value_kind:     global_buffer
      - .offset:         8
        .size:           8
        .value_kind:     by_value
      - .offset:         16
        .size:           8
        .value_kind:     by_value
      - .offset:         24
        .size:           4
        .value_kind:     hidden_block_count_x
      - .offset:         28
        .size:           4
        .value_kind:     hidden_block_count_y
      - .offset:         32
        .size:           4
        .value_kind:     hidden_block_count_z
      - .offset:         36
        .size:           2
        .value_kind:     hidden_group_size_x
      - .offset:         38
        .size:           2
        .value_kind:     hidden_group_size_y
      - .offset:         40
        .size:           2
        .value_kind:     hidden_group_size_z
      - .offset:         42
        .size:           2
        .value_kind:     hidden_remainder_x
      - .offset:         44
        .size:           2
        .value_kind:     hidden_remainder_y
      - .offset:         46
        .size:           2
        .value_kind:     hidden_remainder_z
      - .offset:         64
        .size:           8
        .value_kind:     hidden_global_offset_x
      - .offset:         72
        .size:           8
        .value_kind:     hidden_global_offset_y
      - .offset:         80
        .size:           8
        .value_kind:     hidden_global_offset_z
      - .offset:         88
        .size:           2
        .value_kind:     hidden_grid_dims
    .group_segment_fixed_size: 0
    .kernarg_segment_align: 8
    .kernarg_segment_size: 280
    .language:       OpenCL C
    .language_version:
      - 2
      - 0
    .max_flat_workgroup_size: 1024
    .name:           _Z12kernel_writePcmm
    .private_segment_fixed_size: 0
    .sgpr_count:     19
    .sgpr_spill_count: 0
    .symbol:         _Z12kernel_writePcmm.kd
    .uniform_work_group_size: 1
    .uses_dynamic_stack: false
    .vgpr_count:     6
    .vgpr_spill_count: 0
    .wavefront_size: 64
  - .agpr_count:     0
    .args:
      - .address_space:  global
        .offset:         0
        .size:           8
        .value_kind:     global_buffer
      - .offset:         8
        .size:           8
        .value_kind:     by_value
      - .offset:         16
        .size:           8
        .value_kind:     by_value
      - .offset:         24
        .size:           8
        .value_kind:     by_value
      - .address_space:  global
        .offset:         32
        .size:           8
        .value_kind:     global_buffer
      - .actual_access:  write_only
        .address_space:  global
        .offset:         40
        .size:           8
        .value_kind:     global_buffer
      - .actual_access:  write_only
        .address_space:  global
        .offset:         48
        .size:           8
        .value_kind:     global_buffer
      - .actual_access:  write_only
        .address_space:  global
        .offset:         56
        .size:           8
        .value_kind:     global_buffer
      - .actual_access:  write_only
        .address_space:  global
        .offset:         64
        .size:           8
        .value_kind:     global_buffer
      - .offset:         72
        .size:           4
        .value_kind:     hidden_block_count_x
      - .offset:         76
        .size:           4
        .value_kind:     hidden_block_count_y
      - .offset:         80
        .size:           4
        .value_kind:     hidden_block_count_z
      - .offset:         84
        .size:           2
        .value_kind:     hidden_group_size_x
      - .offset:         86
        .size:           2
        .value_kind:     hidden_group_size_y
      - .offset:         88
        .size:           2
        .value_kind:     hidden_group_size_z
      - .offset:         90
        .size:           2
        .value_kind:     hidden_remainder_x
      - .offset:         92
        .size:           2
        .value_kind:     hidden_remainder_y
      - .offset:         94
        .size:           2
        .value_kind:     hidden_remainder_z
      - .offset:         112
        .size:           8
        .value_kind:     hidden_global_offset_x
      - .offset:         120
        .size:           8
        .value_kind:     hidden_global_offset_y
      - .offset:         128
        .size:           8
        .value_kind:     hidden_global_offset_z
      - .offset:         136
        .size:           2
        .value_kind:     hidden_grid_dims
    .group_segment_fixed_size: 0
    .kernarg_segment_align: 8
    .kernarg_segment_size: 328
    .language:       OpenCL C
    .language_version:
      - 2
      - 0
    .max_flat_workgroup_size: 1024
    .name:           _Z17kernel_read_writePcmmmPjPmS1_S1_S1_
    .private_segment_fixed_size: 0
    .sgpr_count:     32
    .sgpr_spill_count: 0
    .symbol:         _Z17kernel_read_writePcmmmPjPmS1_S1_S1_.kd
    .uniform_work_group_size: 1
    .uses_dynamic_stack: false
    .vgpr_count:     12
    .vgpr_spill_count: 0
    .wavefront_size: 64
  - .agpr_count:     0
    .args:
      - .address_space:  global
        .offset:         0
        .size:           8
        .value_kind:     global_buffer
      - .offset:         8
        .size:           8
        .value_kind:     by_value
      - .offset:         16
        .size:           8
        .value_kind:     by_value
      - .address_space:  global
        .offset:         24
        .size:           8
        .value_kind:     global_buffer
      - .actual_access:  write_only
        .address_space:  global
        .offset:         32
        .size:           8
        .value_kind:     global_buffer
      - .actual_access:  write_only
        .address_space:  global
        .offset:         40
        .size:           8
        .value_kind:     global_buffer
      - .actual_access:  write_only
        .address_space:  global
        .offset:         48
        .size:           8
        .value_kind:     global_buffer
      - .actual_access:  write_only
        .address_space:  global
        .offset:         56
        .size:           8
        .value_kind:     global_buffer
      - .offset:         64
        .size:           4
        .value_kind:     hidden_block_count_x
      - .offset:         68
        .size:           4
        .value_kind:     hidden_block_count_y
      - .offset:         72
        .size:           4
        .value_kind:     hidden_block_count_z
      - .offset:         76
        .size:           2
        .value_kind:     hidden_group_size_x
      - .offset:         78
        .size:           2
        .value_kind:     hidden_group_size_y
      - .offset:         80
        .size:           2
        .value_kind:     hidden_group_size_z
      - .offset:         82
        .size:           2
        .value_kind:     hidden_remainder_x
      - .offset:         84
        .size:           2
        .value_kind:     hidden_remainder_y
      - .offset:         86
        .size:           2
        .value_kind:     hidden_remainder_z
      - .offset:         104
        .size:           8
        .value_kind:     hidden_global_offset_x
      - .offset:         112
        .size:           8
        .value_kind:     hidden_global_offset_y
      - .offset:         120
        .size:           8
        .value_kind:     hidden_global_offset_z
      - .offset:         128
        .size:           2
        .value_kind:     hidden_grid_dims
    .group_segment_fixed_size: 0
    .kernarg_segment_align: 8
    .kernarg_segment_size: 320
    .language:       OpenCL C
    .language_version:
      - 2
      - 0
    .max_flat_workgroup_size: 1024
    .name:           _Z11kernel_readPKcmmPjPmS2_S2_S2_
    .private_segment_fixed_size: 0
    .sgpr_count:     32
    .sgpr_spill_count: 0
    .symbol:         _Z11kernel_readPKcmmPjPmS2_S2_S2_.kd
    .uniform_work_group_size: 1
    .uses_dynamic_stack: false
    .vgpr_count:     10
    .vgpr_spill_count: 0
    .wavefront_size: 64
  - .agpr_count:     0
    .args:
      - .address_space:  global
        .offset:         0
        .size:           8
        .value_kind:     global_buffer
      - .offset:         8
        .size:           8
        .value_kind:     by_value
      - .offset:         16
        .size:           4
        .value_kind:     hidden_block_count_x
      - .offset:         20
        .size:           4
        .value_kind:     hidden_block_count_y
      - .offset:         24
        .size:           4
        .value_kind:     hidden_block_count_z
      - .offset:         28
        .size:           2
        .value_kind:     hidden_group_size_x
      - .offset:         30
        .size:           2
        .value_kind:     hidden_group_size_y
      - .offset:         32
        .size:           2
        .value_kind:     hidden_group_size_z
      - .offset:         34
        .size:           2
        .value_kind:     hidden_remainder_x
      - .offset:         36
        .size:           2
        .value_kind:     hidden_remainder_y
      - .offset:         38
        .size:           2
        .value_kind:     hidden_remainder_z
      - .offset:         56
        .size:           8
        .value_kind:     hidden_global_offset_x
      - .offset:         64
        .size:           8
        .value_kind:     hidden_global_offset_y
      - .offset:         72
        .size:           8
        .value_kind:     hidden_global_offset_z
      - .offset:         80
        .size:           2
        .value_kind:     hidden_grid_dims
    .group_segment_fixed_size: 0
    .kernarg_segment_align: 8
    .kernarg_segment_size: 272
    .language:       OpenCL C
    .language_version:
      - 2
      - 0
    .max_flat_workgroup_size: 1024
    .name:           _Z12kernel5_initPcm
    .private_segment_fixed_size: 0
    .sgpr_count:     16
    .sgpr_spill_count: 0
    .symbol:         _Z12kernel5_initPcm.kd
    .uniform_work_group_size: 1
    .uses_dynamic_stack: false
    .vgpr_count:     10
    .vgpr_spill_count: 0
    .wavefront_size: 64
  - .agpr_count:     0
    .args:
      - .address_space:  global
        .offset:         0
        .size:           8
        .value_kind:     global_buffer
      - .offset:         8
        .size:           8
        .value_kind:     by_value
      - .offset:         16
        .size:           4
        .value_kind:     hidden_block_count_x
      - .offset:         20
        .size:           4
        .value_kind:     hidden_block_count_y
      - .offset:         24
        .size:           4
        .value_kind:     hidden_block_count_z
      - .offset:         28
        .size:           2
        .value_kind:     hidden_group_size_x
      - .offset:         30
        .size:           2
        .value_kind:     hidden_group_size_y
      - .offset:         32
        .size:           2
        .value_kind:     hidden_group_size_z
      - .offset:         34
        .size:           2
        .value_kind:     hidden_remainder_x
      - .offset:         36
        .size:           2
        .value_kind:     hidden_remainder_y
      - .offset:         38
        .size:           2
        .value_kind:     hidden_remainder_z
      - .offset:         56
        .size:           8
        .value_kind:     hidden_global_offset_x
      - .offset:         64
        .size:           8
        .value_kind:     hidden_global_offset_y
      - .offset:         72
        .size:           8
        .value_kind:     hidden_global_offset_z
      - .offset:         80
        .size:           2
        .value_kind:     hidden_grid_dims
    .group_segment_fixed_size: 0
    .kernarg_segment_align: 8
    .kernarg_segment_size: 272
    .language:       OpenCL C
    .language_version:
      - 2
      - 0
    .max_flat_workgroup_size: 1024
    .name:           _Z12kernel5_movePcm
    .private_segment_fixed_size: 0
    .sgpr_count:     22
    .sgpr_spill_count: 0
    .symbol:         _Z12kernel5_movePcm.kd
    .uniform_work_group_size: 1
    .uses_dynamic_stack: false
    .vgpr_count:     40
    .vgpr_spill_count: 0
    .wavefront_size: 64
  - .agpr_count:     0
    .args:
      - .address_space:  global
        .offset:         0
        .size:           8
        .value_kind:     global_buffer
      - .offset:         8
        .size:           8
        .value_kind:     by_value
      - .address_space:  global
        .offset:         16
        .size:           8
        .value_kind:     global_buffer
      - .actual_access:  write_only
        .address_space:  global
        .offset:         24
        .size:           8
        .value_kind:     global_buffer
      - .actual_access:  write_only
        .address_space:  global
        .offset:         32
        .size:           8
        .value_kind:     global_buffer
      - .actual_access:  write_only
        .address_space:  global
        .offset:         40
        .size:           8
        .value_kind:     global_buffer
      - .actual_access:  write_only
        .address_space:  global
        .offset:         48
        .size:           8
        .value_kind:     global_buffer
      - .offset:         56
        .size:           4
        .value_kind:     hidden_block_count_x
      - .offset:         60
        .size:           4
        .value_kind:     hidden_block_count_y
      - .offset:         64
        .size:           4
        .value_kind:     hidden_block_count_z
      - .offset:         68
        .size:           2
        .value_kind:     hidden_group_size_x
      - .offset:         70
        .size:           2
        .value_kind:     hidden_group_size_y
      - .offset:         72
        .size:           2
        .value_kind:     hidden_group_size_z
      - .offset:         74
        .size:           2
        .value_kind:     hidden_remainder_x
      - .offset:         76
        .size:           2
        .value_kind:     hidden_remainder_y
      - .offset:         78
        .size:           2
        .value_kind:     hidden_remainder_z
      - .offset:         96
        .size:           8
        .value_kind:     hidden_global_offset_x
      - .offset:         104
        .size:           8
        .value_kind:     hidden_global_offset_y
      - .offset:         112
        .size:           8
        .value_kind:     hidden_global_offset_z
      - .offset:         120
        .size:           2
        .value_kind:     hidden_grid_dims
    .group_segment_fixed_size: 0
    .kernarg_segment_align: 8
    .kernarg_segment_size: 312
    .language:       OpenCL C
    .language_version:
      - 2
      - 0
    .max_flat_workgroup_size: 1024
    .name:           _Z13kernel5_checkPKcmPjPmS2_S2_S2_
    .private_segment_fixed_size: 0
    .sgpr_count:     31
    .sgpr_spill_count: 0
    .symbol:         _Z13kernel5_checkPKcmPjPmS2_S2_S2_.kd
    .uniform_work_group_size: 1
    .uses_dynamic_stack: false
    .vgpr_count:     10
    .vgpr_spill_count: 0
    .wavefront_size: 64
amdhsa.target:   amdgcn-amd-amdhsa--gfx950
amdhsa.version:
  - 1
  - 2
...

	.end_amdgpu_metadata
